;; amdgpu-corpus repo=ROCm/rocFFT kind=compiled arch=gfx906 opt=O3
	.text
	.amdgcn_target "amdgcn-amd-amdhsa--gfx906"
	.amdhsa_code_object_version 6
	.protected	bluestein_single_fwd_len1600_dim1_sp_op_CI_CI ; -- Begin function bluestein_single_fwd_len1600_dim1_sp_op_CI_CI
	.globl	bluestein_single_fwd_len1600_dim1_sp_op_CI_CI
	.p2align	8
	.type	bluestein_single_fwd_len1600_dim1_sp_op_CI_CI,@function
bluestein_single_fwd_len1600_dim1_sp_op_CI_CI: ; @bluestein_single_fwd_len1600_dim1_sp_op_CI_CI
; %bb.0:
	s_load_dwordx4 s[8:11], s[4:5], 0x28
	v_mul_u32_u24_e32 v1, 0x290, v0
	v_lshrrev_b32_e32 v6, 16, v1
	v_lshl_add_u32 v104, s6, 1, v6
	v_mov_b32_e32 v105, 0
	s_waitcnt lgkmcnt(0)
	v_cmp_gt_u64_e32 vcc, s[8:9], v[104:105]
	s_and_saveexec_b64 s[0:1], vcc
	s_cbranch_execz .LBB0_23
; %bb.1:
	s_load_dwordx4 s[0:3], s[4:5], 0x18
	v_mul_lo_u16_e32 v1, 0x64, v6
	v_sub_u16_e32 v132, v0, v1
	v_or_b32_e32 v131, 0x280, v132
	v_lshlrev_b32_e32 v29, 3, v132
	s_waitcnt lgkmcnt(0)
	s_load_dwordx4 s[12:15], s[0:1], 0x0
	v_mov_b32_e32 v30, 0xa00
	v_or_b32_e32 v130, 0x500, v132
	v_lshlrev_b32_e32 v134, 3, v131
	s_movk_i32 s7, 0x2000
	s_waitcnt lgkmcnt(0)
	v_mad_u64_u32 v[0:1], s[0:1], s14, v104, 0
	v_mad_u64_u32 v[2:3], s[0:1], s12, v132, 0
	s_mul_i32 s6, s13, 0xa00
	v_lshlrev_b32_e32 v135, 3, v130
	v_mad_u64_u32 v[4:5], s[0:1], s15, v104, v[1:2]
	s_load_dwordx2 s[14:15], s[4:5], 0x0
	v_mov_b32_e32 v5, s11
	v_mad_u64_u32 v[7:8], s[0:1], s13, v132, v[3:4]
	v_mov_b32_e32 v1, v4
	v_lshlrev_b64 v[0:1], 3, v[0:1]
	v_mov_b32_e32 v3, v7
	v_add_co_u32_e32 v27, vcc, s10, v0
	s_mul_i32 s0, s13, 0xa0
	s_mul_hi_u32 s1, s12, 0xa0
	v_addc_co_u32_e32 v28, vcc, v5, v1, vcc
	v_lshlrev_b64 v[0:1], 3, v[2:3]
	s_add_i32 s1, s1, s0
	s_mul_i32 s0, s12, 0xa0
	s_lshl_b64 s[16:17], s[0:1], 3
	v_mad_u64_u32 v[4:5], s[0:1], s12, v131, 0
	v_add_co_u32_e32 v0, vcc, v27, v0
	v_addc_co_u32_e32 v1, vcc, v28, v1, vcc
	s_waitcnt lgkmcnt(0)
	v_mov_b32_e32 v2, s15
	v_add_co_u32_e32 v100, vcc, s14, v29
	v_addc_co_u32_e32 v101, vcc, 0, v2, vcc
	v_mad_u64_u32 v[11:12], s[0:1], s13, v131, v[5:6]
	global_load_dwordx2 v[7:8], v[0:1], off
	v_mov_b32_e32 v22, s17
	v_add_co_u32_e32 v0, vcc, s16, v0
	v_addc_co_u32_e32 v1, vcc, v1, v22, vcc
	v_add_co_u32_e32 v2, vcc, s16, v0
	v_addc_co_u32_e32 v3, vcc, v1, v22, vcc
	v_mov_b32_e32 v5, v11
	v_add_co_u32_e32 v9, vcc, s16, v2
	v_lshlrev_b64 v[4:5], 3, v[4:5]
	v_addc_co_u32_e32 v10, vcc, v3, v22, vcc
	v_add_co_u32_e32 v4, vcc, v27, v4
	v_mad_u64_u32 v[11:12], s[0:1], s12, v30, v[9:10]
	v_addc_co_u32_e32 v5, vcc, v28, v5, vcc
	s_movk_i32 s0, 0x1000
	global_load_dwordx2 v[121:122], v29, s[14:15]
	global_load_dwordx2 v[119:120], v29, s[14:15] offset:1280
	global_load_dwordx2 v[115:116], v29, s[14:15] offset:2560
	;; [unrolled: 1-line block ×3, first 2 shown]
	global_load_dwordx2 v[13:14], v[0:1], off
	global_load_dwordx2 v[15:16], v[2:3], off
	global_load_dwordx2 v[17:18], v[9:10], off
	global_load_dwordx2 v[19:20], v[4:5], off
	v_add_co_u32_e32 v0, vcc, s0, v100
	v_mad_u64_u32 v[4:5], s[0:1], s12, v130, 0
	v_addc_co_u32_e32 v1, vcc, 0, v101, vcc
	v_add_u32_e32 v12, s6, v12
	v_add_co_u32_e32 v2, vcc, s16, v11
	v_addc_co_u32_e32 v3, vcc, v12, v22, vcc
	global_load_dwordx2 v[9:10], v[11:12], off
	s_nop 0
	global_load_dwordx2 v[11:12], v[2:3], off
	global_load_dwordx2 v[117:118], v134, s[14:15]
	global_load_dwordx2 v[111:112], v[0:1], off offset:2304
	global_load_dwordx2 v[105:106], v[0:1], off offset:3584
	v_add_co_u32_e32 v21, vcc, s16, v2
	v_mov_b32_e32 v2, v5
	v_mad_u64_u32 v[25:26], s[0:1], s13, v130, v[2:3]
	v_addc_co_u32_e32 v22, vcc, v3, v22, vcc
	v_mov_b32_e32 v5, v25
	v_add_co_u32_e32 v2, vcc, s7, v100
	v_lshlrev_b64 v[4:5], 3, v[4:5]
	v_addc_co_u32_e32 v3, vcc, 0, v101, vcc
	v_add_co_u32_e32 v4, vcc, v27, v4
	v_addc_co_u32_e32 v5, vcc, v28, v5, vcc
	global_load_dwordx2 v[25:26], v[4:5], off
	v_mad_u64_u32 v[4:5], s[0:1], s12, v30, v[21:22]
	global_load_dwordx2 v[23:24], v[21:22], off
	global_load_dwordx2 v[109:110], v[2:3], off offset:768
	global_load_dwordx2 v[107:108], v135, s[14:15]
	v_add_u32_e32 v5, s6, v5
	global_load_dwordx2 v[21:22], v[4:5], off
	global_load_dwordx2 v[102:103], v[2:3], off offset:3328
	v_and_b32_e32 v6, 1, v6
	v_cmp_eq_u32_e32 vcc, 1, v6
	v_mov_b32_e32 v27, 0x3200
	v_cndmask_b32_e32 v133, 0, v27, vcc
	v_add_u32_e32 v129, v133, v29
	s_load_dwordx2 s[6:7], s[4:5], 0x38
	s_load_dwordx4 s[8:11], s[2:3], 0x0
	v_cmp_gt_u16_e64 s[0:1], 60, v132
	s_waitcnt vmcnt(18)
	v_mul_f32_e32 v6, v8, v122
	v_fmac_f32_e32 v6, v7, v121
	v_mul_f32_e32 v7, v7, v122
	v_fma_f32 v7, v8, v121, -v7
	s_waitcnt vmcnt(14)
	v_mul_f32_e32 v27, v14, v120
	v_mul_f32_e32 v8, v13, v120
	v_fmac_f32_e32 v27, v13, v119
	v_fma_f32 v28, v14, v119, -v8
	ds_write2_b64 v129, v[6:7], v[27:28] offset1:160
	s_waitcnt vmcnt(13)
	v_mul_f32_e32 v6, v15, v116
	v_mul_f32_e32 v7, v16, v116
	v_fma_f32 v8, v16, v115, -v6
	s_waitcnt vmcnt(12)
	v_mul_f32_e32 v13, v18, v114
	v_mul_f32_e32 v6, v17, v114
	v_fmac_f32_e32 v7, v15, v115
	v_fmac_f32_e32 v13, v17, v113
	v_fma_f32 v14, v18, v113, -v6
	v_add_u32_e32 v6, 0x800, v129
	ds_write2_b64 v6, v[7:8], v[13:14] offset0:64 offset1:224
	s_waitcnt vmcnt(8)
	v_mul_f32_e32 v7, v19, v118
	v_mul_f32_e32 v13, v20, v118
	v_fma_f32 v14, v20, v117, -v7
	s_waitcnt vmcnt(7)
	v_mul_f32_e32 v8, v10, v112
	v_mul_f32_e32 v7, v9, v112
	v_fmac_f32_e32 v13, v19, v117
	v_fmac_f32_e32 v8, v9, v111
	v_fma_f32 v9, v10, v111, -v7
	v_add_u32_e32 v7, 0x1400, v129
	ds_write2_b64 v7, v[13:14], v[8:9] offset1:160
	s_waitcnt vmcnt(6)
	v_mul_f32_e32 v9, v12, v106
	v_mul_f32_e32 v8, v11, v106
	v_fmac_f32_e32 v9, v11, v105
	v_fma_f32 v10, v12, v105, -v8
	s_waitcnt vmcnt(3)
	v_mul_f32_e32 v11, v24, v110
	v_mul_f32_e32 v8, v23, v110
	v_fmac_f32_e32 v11, v23, v109
	v_fma_f32 v12, v24, v109, -v8
	v_add_u32_e32 v8, 0x1c00, v129
	ds_write2_b64 v8, v[9:10], v[11:12] offset0:64 offset1:224
	s_waitcnt vmcnt(2)
	v_mul_f32_e32 v9, v25, v108
	v_mul_f32_e32 v10, v26, v108
	v_fma_f32 v11, v26, v107, -v9
	s_waitcnt vmcnt(0)
	v_mul_f32_e32 v12, v22, v103
	v_mul_f32_e32 v9, v21, v103
	v_fmac_f32_e32 v10, v25, v107
	v_fmac_f32_e32 v12, v21, v102
	v_fma_f32 v13, v22, v102, -v9
	v_add_u32_e32 v9, 0x2800, v129
	ds_write2_b64 v9, v[10:11], v[12:13] offset1:160
	s_and_saveexec_b64 s[2:3], s[0:1]
	s_cbranch_execz .LBB0_3
; %bb.2:
	v_mov_b32_e32 v10, 0xffffd620
	v_mad_u64_u32 v[4:5], s[18:19], s12, v10, v[4:5]
	s_mulk_i32 s13, 0xd620
	s_sub_i32 s12, s13, s12
	v_add_u32_e32 v5, s12, v5
	global_load_dwordx2 v[10:11], v[4:5], off
	v_mov_b32_e32 v44, s17
	v_add_co_u32_e32 v4, vcc, s16, v4
	v_addc_co_u32_e32 v5, vcc, v5, v44, vcc
	global_load_dwordx2 v[12:13], v[4:5], off
	v_add_co_u32_e32 v4, vcc, s16, v4
	v_addc_co_u32_e32 v5, vcc, v5, v44, vcc
	global_load_dwordx2 v[14:15], v[4:5], off
	;; [unrolled: 3-line block ×3, first 2 shown]
	global_load_dwordx2 v[18:19], v[100:101], off offset:800
	global_load_dwordx2 v[20:21], v[100:101], off offset:2080
	;; [unrolled: 1-line block ×4, first 2 shown]
	v_add_co_u32_e32 v4, vcc, s16, v4
	v_addc_co_u32_e32 v5, vcc, v5, v44, vcc
	global_load_dwordx2 v[26:27], v[4:5], off
	global_load_dwordx2 v[28:29], v[0:1], off offset:1824
	v_add_co_u32_e32 v4, vcc, s16, v4
	v_addc_co_u32_e32 v5, vcc, v5, v44, vcc
	global_load_dwordx2 v[30:31], v[4:5], off
	v_add_co_u32_e32 v4, vcc, s16, v4
	v_addc_co_u32_e32 v5, vcc, v5, v44, vcc
	global_load_dwordx2 v[32:33], v[4:5], off
	v_add_co_u32_e32 v4, vcc, s16, v4
	v_addc_co_u32_e32 v5, vcc, v5, v44, vcc
	global_load_dwordx2 v[34:35], v[0:1], off offset:3104
	global_load_dwordx2 v[36:37], v[4:5], off
	global_load_dwordx2 v[38:39], v[2:3], off offset:288
	global_load_dwordx2 v[40:41], v[2:3], off offset:1568
	v_add_co_u32_e32 v0, vcc, s16, v4
	v_addc_co_u32_e32 v1, vcc, v5, v44, vcc
	global_load_dwordx2 v[4:5], v[0:1], off
	global_load_dwordx2 v[42:43], v[2:3], off offset:2848
	v_add_co_u32_e32 v0, vcc, s16, v0
	v_addc_co_u32_e32 v1, vcc, v1, v44, vcc
	v_add_co_u32_e32 v2, vcc, 0x3000, v100
	v_addc_co_u32_e32 v3, vcc, 0, v101, vcc
	global_load_dwordx2 v[44:45], v[2:3], off offset:32
	global_load_dwordx2 v[46:47], v[0:1], off
	v_add_u32_e32 v48, 0x200, v129
	v_add_u32_e32 v49, 0xc00, v129
	s_waitcnt vmcnt(15)
	v_mul_f32_e32 v0, v11, v19
	v_mul_f32_e32 v1, v10, v19
	s_waitcnt vmcnt(14)
	v_mul_f32_e32 v2, v13, v21
	v_mul_f32_e32 v3, v12, v21
	v_fmac_f32_e32 v0, v10, v18
	v_fma_f32 v1, v11, v18, -v1
	v_fmac_f32_e32 v2, v12, v20
	v_fma_f32 v3, v13, v20, -v3
	s_waitcnt vmcnt(13)
	v_mul_f32_e32 v10, v15, v23
	v_mul_f32_e32 v11, v14, v23
	ds_write2_b64 v48, v[0:1], v[2:3] offset0:36 offset1:196
	s_waitcnt vmcnt(12)
	v_mul_f32_e32 v0, v17, v25
	v_mul_f32_e32 v1, v16, v25
	v_fmac_f32_e32 v10, v14, v22
	v_fma_f32 v11, v15, v22, -v11
	v_fmac_f32_e32 v0, v16, v24
	v_fma_f32 v1, v17, v24, -v1
	s_waitcnt vmcnt(10)
	v_mul_f32_e32 v2, v27, v29
	v_mul_f32_e32 v3, v26, v29
	ds_write2_b64 v49, v[10:11], v[0:1] offset0:36 offset1:196
	s_waitcnt vmcnt(7)
	v_mul_f32_e32 v0, v31, v35
	v_mul_f32_e32 v1, v30, v35
	v_fmac_f32_e32 v2, v26, v28
	v_fma_f32 v3, v27, v28, -v3
	v_fmac_f32_e32 v0, v30, v34
	v_fma_f32 v1, v31, v34, -v1
	v_add_u32_e32 v10, 0x1600, v129
	ds_write2_b64 v10, v[2:3], v[0:1] offset0:36 offset1:196
	s_waitcnt vmcnt(5)
	v_mul_f32_e32 v0, v33, v39
	v_mul_f32_e32 v1, v32, v39
	s_waitcnt vmcnt(4)
	v_mul_f32_e32 v2, v37, v41
	v_mul_f32_e32 v3, v36, v41
	v_fmac_f32_e32 v0, v32, v38
	v_fma_f32 v1, v33, v38, -v1
	v_fmac_f32_e32 v2, v36, v40
	v_fma_f32 v3, v37, v40, -v3
	v_add_u32_e32 v10, 0x2000, v129
	ds_write2_b64 v10, v[0:1], v[2:3] offset0:36 offset1:196
	s_waitcnt vmcnt(2)
	v_mul_f32_e32 v0, v5, v43
	v_mul_f32_e32 v1, v4, v43
	s_waitcnt vmcnt(0)
	v_mul_f32_e32 v2, v47, v45
	v_mul_f32_e32 v3, v46, v45
	v_fmac_f32_e32 v0, v4, v42
	v_fma_f32 v1, v5, v42, -v1
	v_fmac_f32_e32 v2, v46, v44
	v_fma_f32 v3, v47, v44, -v3
	v_add_u32_e32 v4, 0x2a00, v129
	ds_write2_b64 v4, v[0:1], v[2:3] offset0:36 offset1:196
.LBB0_3:
	s_or_b64 exec, exec, s[2:3]
	s_waitcnt lgkmcnt(0)
	s_barrier
	ds_read2_b64 v[20:23], v129 offset1:160
	ds_read2_b64 v[24:27], v6 offset0:64 offset1:224
	ds_read2_b64 v[28:31], v7 offset1:160
	ds_read2_b64 v[32:35], v8 offset0:64 offset1:224
	ds_read2_b64 v[36:39], v9 offset1:160
	s_load_dwordx2 s[2:3], s[4:5], 0x8
                                        ; implicit-def: $vgpr2
                                        ; implicit-def: $vgpr12
                                        ; implicit-def: $vgpr16
                                        ; implicit-def: $vgpr10
                                        ; implicit-def: $vgpr6
	s_and_saveexec_b64 s[4:5], s[0:1]
	s_cbranch_execz .LBB0_5
; %bb.4:
	v_add_u32_e32 v0, 0x200, v129
	ds_read2_b64 v[4:7], v0 offset0:36 offset1:196
	v_add_u32_e32 v0, 0xc00, v129
	ds_read2_b64 v[8:11], v0 offset0:36 offset1:196
	v_add_u32_e32 v0, 0x1600, v129
	v_add_u32_e32 v12, 0x2000, v129
	;; [unrolled: 1-line block ×3, first 2 shown]
	ds_read2_b64 v[0:3], v0 offset0:36 offset1:196
	ds_read2_b64 v[12:15], v12 offset0:36 offset1:196
	ds_read2_b64 v[16:19], v16 offset0:36 offset1:196
.LBB0_5:
	s_or_b64 exec, exec, s[4:5]
	s_waitcnt lgkmcnt(0)
	v_add_f32_e32 v40, v20, v24
	v_add_f32_e32 v40, v40, v28
	;; [unrolled: 1-line block ×5, first 2 shown]
	v_fma_f32 v48, -0.5, v40, v20
	v_sub_f32_e32 v40, v25, v37
	v_mov_b32_e32 v49, v48
	v_fmac_f32_e32 v49, 0x3f737871, v40
	v_sub_f32_e32 v41, v29, v33
	v_sub_f32_e32 v42, v24, v28
	;; [unrolled: 1-line block ×3, first 2 shown]
	v_fmac_f32_e32 v48, 0xbf737871, v40
	v_fmac_f32_e32 v49, 0x3f167918, v41
	v_add_f32_e32 v42, v42, v43
	v_fmac_f32_e32 v48, 0xbf167918, v41
	v_fmac_f32_e32 v49, 0x3e9e377a, v42
	;; [unrolled: 1-line block ×3, first 2 shown]
	v_add_f32_e32 v42, v24, v36
	v_fma_f32 v20, -0.5, v42, v20
	v_mov_b32_e32 v50, v20
	v_fmac_f32_e32 v50, 0xbf737871, v41
	v_fmac_f32_e32 v20, 0x3f737871, v41
	;; [unrolled: 1-line block ×4, first 2 shown]
	v_add_f32_e32 v40, v21, v25
	v_add_f32_e32 v40, v40, v29
	;; [unrolled: 1-line block ×5, first 2 shown]
	v_fma_f32 v56, -0.5, v40, v21
	v_sub_f32_e32 v42, v28, v24
	v_sub_f32_e32 v24, v24, v36
	v_mov_b32_e32 v54, v56
	v_sub_f32_e32 v43, v32, v36
	v_fmac_f32_e32 v54, 0xbf737871, v24
	v_sub_f32_e32 v28, v28, v32
	v_sub_f32_e32 v32, v25, v29
	;; [unrolled: 1-line block ×3, first 2 shown]
	v_fmac_f32_e32 v56, 0x3f737871, v24
	v_fmac_f32_e32 v54, 0xbf167918, v28
	v_add_f32_e32 v32, v32, v36
	v_fmac_f32_e32 v56, 0x3f167918, v28
	v_fmac_f32_e32 v54, 0x3e9e377a, v32
	;; [unrolled: 1-line block ×3, first 2 shown]
	v_add_f32_e32 v32, v25, v37
	v_fma_f32 v21, -0.5, v32, v21
	v_mov_b32_e32 v32, v21
	v_fmac_f32_e32 v32, 0x3f737871, v28
	v_sub_f32_e32 v25, v29, v25
	v_sub_f32_e32 v29, v33, v37
	v_fmac_f32_e32 v21, 0xbf737871, v28
	v_fmac_f32_e32 v32, 0xbf167918, v24
	v_add_f32_e32 v25, v25, v29
	v_fmac_f32_e32 v21, 0x3f167918, v24
	v_fmac_f32_e32 v32, 0x3e9e377a, v25
	;; [unrolled: 1-line block ×3, first 2 shown]
	v_add_f32_e32 v25, v30, v34
	v_fma_f32 v25, -0.5, v25, v22
	v_sub_f32_e32 v28, v27, v39
	v_mov_b32_e32 v29, v25
	v_fmac_f32_e32 v29, 0x3f737871, v28
	v_sub_f32_e32 v33, v31, v35
	v_sub_f32_e32 v36, v26, v30
	;; [unrolled: 1-line block ×3, first 2 shown]
	v_fmac_f32_e32 v25, 0xbf737871, v28
	v_fmac_f32_e32 v29, 0x3f167918, v33
	v_add_f32_e32 v36, v36, v37
	v_fmac_f32_e32 v25, 0xbf167918, v33
	v_fmac_f32_e32 v29, 0x3e9e377a, v36
	;; [unrolled: 1-line block ×3, first 2 shown]
	v_add_f32_e32 v36, v26, v38
	v_add_f32_e32 v24, v22, v26
	v_fma_f32 v22, -0.5, v36, v22
	v_mov_b32_e32 v41, v22
	v_fmac_f32_e32 v41, 0xbf737871, v33
	v_fmac_f32_e32 v22, 0x3f737871, v33
	v_add_f32_e32 v33, v31, v35
	v_sub_f32_e32 v36, v30, v26
	v_sub_f32_e32 v37, v34, v38
	v_fma_f32 v33, -0.5, v33, v23
	v_add_f32_e32 v42, v42, v43
	v_add_f32_e32 v24, v24, v30
	v_fmac_f32_e32 v41, 0x3f167918, v28
	v_add_f32_e32 v36, v36, v37
	v_fmac_f32_e32 v22, 0xbf167918, v28
	v_sub_f32_e32 v26, v26, v38
	v_mov_b32_e32 v43, v33
	v_add_f32_e32 v24, v24, v34
	v_fmac_f32_e32 v41, 0x3e9e377a, v36
	v_fmac_f32_e32 v22, 0x3e9e377a, v36
	;; [unrolled: 1-line block ×3, first 2 shown]
	v_sub_f32_e32 v30, v30, v34
	v_sub_f32_e32 v34, v27, v31
	;; [unrolled: 1-line block ×3, first 2 shown]
	v_fmac_f32_e32 v33, 0x3f737871, v26
	v_fmac_f32_e32 v43, 0xbf167918, v30
	v_add_f32_e32 v34, v34, v36
	v_fmac_f32_e32 v33, 0x3f167918, v30
	v_fmac_f32_e32 v43, 0x3e9e377a, v34
	;; [unrolled: 1-line block ×3, first 2 shown]
	v_add_f32_e32 v34, v27, v39
	v_add_f32_e32 v28, v23, v27
	v_fmac_f32_e32 v23, -0.5, v34
	v_mov_b32_e32 v34, v23
	v_add_f32_e32 v28, v28, v31
	v_fmac_f32_e32 v34, 0x3f737871, v30
	v_sub_f32_e32 v27, v31, v27
	v_sub_f32_e32 v31, v35, v39
	v_fmac_f32_e32 v23, 0xbf737871, v30
	s_movk_i32 s4, 0x64
	v_fmac_f32_e32 v34, 0xbf167918, v26
	v_add_f32_e32 v27, v27, v31
	v_fmac_f32_e32 v23, 0x3f167918, v26
	v_add_co_u32_e32 v44, vcc, s4, v132
	s_mov_b32 s4, 0x3f737871
	v_fmac_f32_e32 v34, 0x3e9e377a, v27
	v_fmac_f32_e32 v23, 0x3e9e377a, v27
	v_mul_f32_e32 v30, 0x3e9e377a, v22
	s_mov_b32 s12, 0xbf737871
	v_fmac_f32_e32 v20, 0x3e9e377a, v42
	v_mul_f32_e32 v26, 0x3f4f1bbd, v29
	v_mul_f32_e32 v27, 0x3f737871, v34
	v_fma_f32 v30, v23, s4, -v30
	v_mul_f32_e32 v29, 0xbf167918, v29
	v_mul_f32_e32 v23, 0x3e9e377a, v23
	v_fmac_f32_e32 v50, 0x3e9e377a, v42
	v_add_f32_e32 v28, v28, v35
	v_fmac_f32_e32 v27, 0x3e9e377a, v41
	v_add_f32_e32 v42, v20, v30
	v_fmac_f32_e32 v29, 0x3f4f1bbd, v43
	v_fma_f32 v22, v22, s12, -v23
	v_sub_f32_e32 v53, v20, v30
	v_add_f32_e32 v20, v12, v0
	s_mov_b32 s13, 0xbf167918
	v_add_f32_e32 v24, v24, v38
	v_add_f32_e32 v28, v28, v39
	v_fmac_f32_e32 v26, 0x3f167918, v43
	v_add_f32_e32 v40, v50, v27
	v_add_f32_e32 v39, v54, v29
	v_add_f32_e32 v43, v21, v22
	v_mul_f32_e32 v23, 0x3f4f1bbd, v33
	v_sub_f32_e32 v51, v50, v27
	v_sub_f32_e32 v50, v54, v29
	;; [unrolled: 1-line block ×3, first 2 shown]
	v_fma_f32 v21, -0.5, v20, v4
	v_add_f32_e32 v36, v47, v24
	v_fma_f32 v23, v25, s13, -v23
	v_sub_f32_e32 v47, v47, v24
	v_sub_f32_e32 v24, v9, v17
	v_mov_b32_e32 v20, v21
	v_mul_f32_e32 v31, 0x3f4f1bbd, v25
	v_add_f32_e32 v46, v56, v23
	v_sub_f32_e32 v56, v56, v23
	v_fmac_f32_e32 v20, 0x3f737871, v24
	v_sub_f32_e32 v25, v1, v13
	v_sub_f32_e32 v22, v8, v0
	v_sub_f32_e32 v23, v16, v12
	v_fmac_f32_e32 v21, 0xbf737871, v24
	v_fmac_f32_e32 v20, 0x3f167918, v25
	v_add_f32_e32 v22, v23, v22
	v_fmac_f32_e32 v21, 0xbf167918, v25
	v_fmac_f32_e32 v20, 0x3e9e377a, v22
	;; [unrolled: 1-line block ×3, first 2 shown]
	v_add_f32_e32 v22, v16, v8
	v_fma_f32 v23, -0.5, v22, v4
	v_mov_b32_e32 v22, v23
	v_fmac_f32_e32 v22, 0xbf737871, v25
	v_fmac_f32_e32 v23, 0x3f737871, v25
	s_mov_b32 s5, 0x3f167918
	v_fmac_f32_e32 v22, 0x3f167918, v24
	v_fmac_f32_e32 v23, 0xbf167918, v24
	v_add_f32_e32 v24, v13, v1
	v_add_f32_e32 v38, v49, v26
	v_fma_f32 v31, v33, s5, -v31
	v_sub_f32_e32 v49, v49, v26
	v_sub_f32_e32 v26, v0, v8
	;; [unrolled: 1-line block ×3, first 2 shown]
	v_fma_f32 v25, -0.5, v24, v5
	v_add_f32_e32 v45, v48, v31
	v_add_f32_e32 v37, v52, v28
	v_sub_f32_e32 v55, v48, v31
	v_sub_f32_e32 v48, v52, v28
	v_add_f32_e32 v26, v27, v26
	v_sub_f32_e32 v28, v8, v16
	v_mov_b32_e32 v24, v25
	v_fmac_f32_e32 v22, 0x3e9e377a, v26
	v_fmac_f32_e32 v23, 0x3e9e377a, v26
	;; [unrolled: 1-line block ×3, first 2 shown]
	v_sub_f32_e32 v29, v0, v12
	v_sub_f32_e32 v26, v9, v1
	v_sub_f32_e32 v27, v17, v13
	v_fmac_f32_e32 v25, 0x3f737871, v28
	v_fmac_f32_e32 v24, 0xbf167918, v29
	v_add_f32_e32 v26, v27, v26
	v_fmac_f32_e32 v25, 0x3f167918, v29
	v_fmac_f32_e32 v24, 0x3e9e377a, v26
	;; [unrolled: 1-line block ×3, first 2 shown]
	v_add_f32_e32 v26, v17, v9
	v_fma_f32 v27, -0.5, v26, v5
	v_mov_b32_e32 v26, v27
	v_mul_f32_e32 v35, 0xbf737871, v41
	v_fmac_f32_e32 v26, 0x3f737871, v29
	v_fmac_f32_e32 v27, 0xbf737871, v29
	;; [unrolled: 1-line block ×5, first 2 shown]
	v_add_f32_e32 v28, v2, v14
	v_add_f32_e32 v41, v32, v35
	v_sub_f32_e32 v52, v32, v35
	v_sub_f32_e32 v30, v1, v9
	;; [unrolled: 1-line block ×3, first 2 shown]
	v_fma_f32 v35, -0.5, v28, v6
	v_add_f32_e32 v30, v31, v30
	v_sub_f32_e32 v28, v11, v19
	v_mov_b32_e32 v32, v35
	v_fmac_f32_e32 v26, 0x3e9e377a, v30
	v_fmac_f32_e32 v27, 0x3e9e377a, v30
	;; [unrolled: 1-line block ×3, first 2 shown]
	v_sub_f32_e32 v29, v3, v15
	v_sub_f32_e32 v30, v10, v2
	;; [unrolled: 1-line block ×3, first 2 shown]
	v_fmac_f32_e32 v35, 0xbf737871, v28
	v_fmac_f32_e32 v32, 0x3f167918, v29
	v_add_f32_e32 v30, v31, v30
	v_fmac_f32_e32 v35, 0xbf167918, v29
	v_fmac_f32_e32 v32, 0x3e9e377a, v30
	;; [unrolled: 1-line block ×3, first 2 shown]
	v_add_f32_e32 v30, v18, v10
	v_fma_f32 v34, -0.5, v30, v6
	v_mov_b32_e32 v33, v34
	v_fmac_f32_e32 v33, 0xbf737871, v29
	v_fmac_f32_e32 v34, 0x3f737871, v29
	;; [unrolled: 1-line block ×4, first 2 shown]
	v_add_f32_e32 v28, v3, v15
	v_sub_f32_e32 v30, v2, v10
	v_sub_f32_e32 v31, v14, v18
	v_fma_f32 v57, -0.5, v28, v7
	v_add_f32_e32 v30, v31, v30
	v_sub_f32_e32 v28, v10, v18
	v_mov_b32_e32 v58, v57
	v_fmac_f32_e32 v33, 0x3e9e377a, v30
	v_fmac_f32_e32 v34, 0x3e9e377a, v30
	;; [unrolled: 1-line block ×3, first 2 shown]
	v_sub_f32_e32 v29, v2, v14
	v_sub_f32_e32 v30, v11, v3
	;; [unrolled: 1-line block ×3, first 2 shown]
	v_fmac_f32_e32 v57, 0x3f737871, v28
	v_fmac_f32_e32 v58, 0xbf167918, v29
	v_add_f32_e32 v30, v31, v30
	v_fmac_f32_e32 v57, 0x3f167918, v29
	v_fmac_f32_e32 v58, 0x3e9e377a, v30
	;; [unrolled: 1-line block ×3, first 2 shown]
	v_add_f32_e32 v30, v19, v11
	v_fma_f32 v59, -0.5, v30, v7
	v_mov_b32_e32 v60, v59
	v_fmac_f32_e32 v60, 0x3f737871, v29
	v_sub_f32_e32 v30, v3, v11
	v_sub_f32_e32 v31, v15, v19
	v_fmac_f32_e32 v60, 0xbf167918, v28
	v_add_f32_e32 v30, v31, v30
	v_fmac_f32_e32 v59, 0xbf737871, v29
	v_fmac_f32_e32 v60, 0x3e9e377a, v30
	v_fmac_f32_e32 v59, 0x3f167918, v28
	v_mul_f32_e32 v28, 0x3f167918, v58
	v_fmac_f32_e32 v59, 0x3e9e377a, v30
	v_fmac_f32_e32 v28, 0x3f4f1bbd, v32
	v_mul_f32_e32 v29, 0x3f737871, v60
	v_mul_f32_e32 v31, 0x3f4f1bbd, v35
	;; [unrolled: 1-line block ×3, first 2 shown]
	v_fmac_f32_e32 v29, 0x3e9e377a, v33
	v_mul_f32_e32 v30, 0x3e9e377a, v34
	v_fma_f32 v31, v57, s5, -v31
	v_fmac_f32_e32 v32, 0x3f4f1bbd, v58
	v_mul_f32_e32 v33, 0xbf737871, v33
	v_mul_f32_e32 v58, 0x3e9e377a, v59
	;; [unrolled: 1-line block ×3, first 2 shown]
	v_fma_f32 v30, v59, s4, -v30
	v_fmac_f32_e32 v33, 0x3e9e377a, v60
	v_fma_f32 v34, v34, s12, -v58
	v_fma_f32 v35, v35, s13, -v57
	v_mul_lo_u16_e32 v57, 10, v132
	v_sub_f32_e32 v64, v20, v28
	v_sub_f32_e32 v66, v22, v29
	v_sub_f32_e32 v60, v23, v30
	v_sub_f32_e32 v62, v21, v31
	v_sub_f32_e32 v65, v24, v32
	v_sub_f32_e32 v67, v26, v33
	v_sub_f32_e32 v61, v27, v34
	v_sub_f32_e32 v63, v25, v35
	v_lshl_add_u32 v137, v57, 3, v133
	v_mul_u32_u24_e32 v136, 10, v44
	s_barrier
	ds_write_b128 v137, v[36:39]
	ds_write_b128 v137, v[40:43] offset:16
	ds_write_b128 v137, v[45:48] offset:32
	;; [unrolled: 1-line block ×4, first 2 shown]
	s_and_saveexec_b64 s[4:5], s[0:1]
	s_cbranch_execz .LBB0_7
; %bb.6:
	v_add_f32_e32 v5, v9, v5
	v_add_f32_e32 v1, v1, v5
	v_add_f32_e32 v1, v13, v1
	v_add_f32_e32 v9, v17, v1
	v_add_f32_e32 v1, v11, v7
	v_add_f32_e32 v1, v3, v1
	v_add_f32_e32 v1, v15, v1
	v_add_f32_e32 v13, v19, v1
	v_add_f32_e32 v1, v8, v4
	v_add_f32_e32 v0, v0, v1
	v_add_f32_e32 v0, v12, v0
	v_add_f32_e32 v8, v16, v0
	v_add_f32_e32 v0, v10, v6
	v_add_f32_e32 v0, v2, v0
	v_add_f32_e32 v0, v14, v0
	v_add_f32_e32 v12, v18, v0
	v_sub_f32_e32 v3, v9, v13
	v_sub_f32_e32 v2, v8, v12
	v_add_f32_e32 v11, v24, v32
	v_add_f32_e32 v9, v13, v9
	;; [unrolled: 1-line block ×4, first 2 shown]
	v_lshl_add_u32 v12, v136, 3, v133
	v_add_f32_e32 v1, v25, v35
	v_add_f32_e32 v7, v27, v34
	;; [unrolled: 1-line block ×6, first 2 shown]
	ds_write_b128 v12, v[8:11]
	ds_write_b128 v12, v[4:7] offset:16
	ds_write_b128 v12, v[0:3] offset:32
	;; [unrolled: 1-line block ×4, first 2 shown]
.LBB0_7:
	s_or_b64 exec, exec, s[4:5]
	v_add_u32_e32 v16, 0x1800, v129
	s_waitcnt lgkmcnt(0)
	s_barrier
	ds_read2_b64 v[45:48], v16 offset0:32 offset1:132
	v_add_u32_e32 v16, 0x2400, v129
	s_movk_i32 s4, 0xcd
	ds_read2_b64 v[53:56], v16 offset0:48 offset1:148
	v_mul_lo_u16_sdwa v16, v132, s4 dst_sel:DWORD dst_unused:UNUSED_PAD src0_sel:BYTE_0 src1_sel:DWORD
	v_lshrrev_b16_e32 v59, 11, v16
	v_mul_lo_u16_e32 v16, 10, v59
	v_sub_u16_e32 v16, v132, v16
	v_and_b32_e32 v84, 0xff, v16
	v_mov_b32_e32 v17, s3
	s_movk_i32 s4, 0x78
	v_mov_b32_e32 v16, s2
	v_mad_u64_u32 v[57:58], s[4:5], v84, s4, v[16:17]
	v_add_u32_e32 v4, 0x400, v129
	v_add_u32_e32 v141, 0x800, v129
	;; [unrolled: 1-line block ×5, first 2 shown]
	ds_read2_b64 v[0:3], v129 offset1:100
	ds_read2_b64 v[4:7], v4 offset0:72 offset1:172
	ds_read2_b64 v[8:11], v141 offset0:144 offset1:244
	;; [unrolled: 1-line block ×5, first 2 shown]
	global_load_dwordx4 v[16:19], v[57:58], off offset:48
	global_load_dwordx4 v[20:23], v[57:58], off offset:32
	;; [unrolled: 1-line block ×3, first 2 shown]
	global_load_dwordx4 v[36:39], v[57:58], off
	v_add_u32_e32 v142, 0x1400, v129
	s_waitcnt vmcnt(0) lgkmcnt(5)
	v_mul_f32_e32 v24, v3, v37
	v_fma_f32 v72, v2, v36, -v24
	global_load_dwordx2 v[125:126], v[57:58], off offset:112
	global_load_dwordx4 v[24:27], v[57:58], off offset:96
	global_load_dwordx4 v[32:35], v[57:58], off offset:80
	;; [unrolled: 1-line block ×3, first 2 shown]
	v_mul_f32_e32 v2, v2, v37
	v_fmac_f32_e32 v2, v3, v36
	s_waitcnt lgkmcnt(4)
	v_mul_f32_e32 v3, v5, v39
	v_fma_f32 v3, v4, v38, -v3
	v_mul_f32_e32 v4, v4, v39
	v_fmac_f32_e32 v4, v5, v38
	v_mul_f32_e32 v5, v7, v29
	v_fma_f32 v5, v6, v28, -v5
	v_mul_f32_e32 v6, v6, v29
	v_fmac_f32_e32 v6, v7, v28
	s_waitcnt lgkmcnt(3)
	v_mul_f32_e32 v7, v9, v31
	v_fma_f32 v7, v8, v30, -v7
	v_mul_f32_e32 v8, v8, v31
	v_fmac_f32_e32 v8, v9, v30
	v_mul_f32_e32 v9, v11, v21
	v_fma_f32 v9, v10, v20, -v9
	;; [unrolled: 9-line block ×3, first 2 shown]
	v_mul_f32_e32 v14, v14, v17
	v_fmac_f32_e32 v14, v15, v16
	v_mul_f32_e32 v15, v46, v19
	v_fma_f32 v15, v45, v18, -v15
	v_mul_f32_e32 v45, v45, v19
	v_fmac_f32_e32 v45, v46, v18
	v_sub_f32_e32 v15, v0, v15
	v_sub_f32_e32 v45, v1, v45
	v_fma_f32 v0, v0, 2.0, -v15
	v_fma_f32 v1, v1, 2.0, -v45
	s_waitcnt vmcnt(0) lgkmcnt(0)
	s_barrier
	v_mul_f32_e32 v58, v71, v126
	v_mul_f32_e32 v57, v68, v27
	v_fma_f32 v58, v70, v125, -v58
	v_mul_f32_e32 v46, v48, v41
	v_fma_f32 v46, v47, v40, -v46
	v_mul_f32_e32 v47, v47, v41
	v_fmac_f32_e32 v47, v48, v40
	v_mul_f32_e32 v48, v50, v43
	v_fma_f32 v48, v49, v42, -v48
	v_mul_f32_e32 v49, v49, v43
	v_fmac_f32_e32 v49, v50, v42
	;; [unrolled: 4-line block ×6, first 2 shown]
	v_fmac_f32_e32 v68, v71, v125
	v_sub_f32_e32 v52, v7, v52
	v_sub_f32_e32 v53, v8, v53
	;; [unrolled: 1-line block ×8, first 2 shown]
	v_fma_f32 v7, v7, 2.0, -v52
	v_fma_f32 v8, v8, 2.0, -v53
	v_sub_f32_e32 v49, v4, v49
	v_fma_f32 v3, v3, 2.0, -v48
	v_sub_f32_e32 v57, v12, v57
	;; [unrolled: 2-line block ×7, first 2 shown]
	v_fma_f32 v4, v4, 2.0, -v49
	v_fma_f32 v12, v12, 2.0, -v57
	v_fma_f32 v2, v2, 2.0, -v47
	v_fma_f32 v10, v10, 2.0, -v55
	v_fma_f32 v6, v6, 2.0, -v51
	v_fma_f32 v14, v14, 2.0, -v68
	v_sub_f32_e32 v7, v0, v7
	v_add_f32_e32 v52, v45, v52
	v_sub_f32_e32 v11, v3, v11
	v_sub_f32_e32 v57, v48, v57
	;; [unrolled: 1-line block ×4, first 2 shown]
	v_mov_b32_e32 v85, v53
	v_sub_f32_e32 v8, v1, v8
	v_fma_f32 v0, v0, 2.0, -v7
	v_fma_f32 v15, v15, 2.0, -v53
	v_sub_f32_e32 v12, v4, v12
	v_fma_f32 v3, v3, 2.0, -v11
	v_add_f32_e32 v56, v49, v56
	v_sub_f32_e32 v10, v2, v10
	v_fma_f32 v69, v69, 2.0, -v9
	v_sub_f32_e32 v55, v46, v55
	v_sub_f32_e32 v14, v6, v14
	v_fma_f32 v5, v5, 2.0, -v13
	v_fmac_f32_e32 v85, 0x3f3504f3, v57
	v_mov_b32_e32 v86, v52
	v_fma_f32 v1, v1, 2.0, -v8
	v_fma_f32 v45, v45, 2.0, -v52
	;; [unrolled: 1-line block ×6, first 2 shown]
	v_add_f32_e32 v54, v47, v54
	v_fma_f32 v46, v46, 2.0, -v55
	v_fma_f32 v6, v6, 2.0, -v14
	v_sub_f32_e32 v68, v50, v68
	v_sub_f32_e32 v70, v0, v3
	v_mov_b32_e32 v80, v15
	v_fmac_f32_e32 v86, 0x3f3504f3, v56
	v_fmac_f32_e32 v85, 0xbf3504f3, v56
	v_sub_f32_e32 v56, v69, v5
	v_fma_f32 v47, v47, 2.0, -v54
	v_add_f32_e32 v58, v51, v58
	v_fma_f32 v50, v50, 2.0, -v68
	v_sub_f32_e32 v71, v1, v4
	v_fma_f32 v3, v0, 2.0, -v70
	v_fmac_f32_e32 v80, 0xbf3504f3, v48
	v_mov_b32_e32 v81, v45
	v_fmac_f32_e32 v86, 0x3f3504f3, v57
	v_sub_f32_e32 v57, v2, v6
	v_fma_f32 v0, v69, 2.0, -v56
	v_mov_b32_e32 v69, v46
	v_fma_f32 v51, v51, 2.0, -v58
	v_fma_f32 v4, v1, 2.0, -v71
	v_fmac_f32_e32 v81, 0xbf3504f3, v49
	v_fmac_f32_e32 v80, 0xbf3504f3, v49
	v_fma_f32 v1, v2, 2.0, -v57
	v_fmac_f32_e32 v69, 0xbf3504f3, v50
	v_mov_b32_e32 v82, v47
	v_fmac_f32_e32 v81, 0x3f3504f3, v48
	v_fma_f32 v15, v15, 2.0, -v80
	v_fmac_f32_e32 v82, 0xbf3504f3, v51
	v_fmac_f32_e32 v69, 0xbf3504f3, v51
	v_sub_f32_e32 v0, v3, v0
	v_sub_f32_e32 v1, v4, v1
	v_fma_f32 v45, v45, 2.0, -v81
	v_sub_f32_e32 v48, v7, v12
	v_fmac_f32_e32 v82, 0x3f3504f3, v50
	v_fma_f32 v6, v46, 2.0, -v69
	v_fma_f32 v2, v3, 2.0, -v0
	;; [unrolled: 1-line block ×3, first 2 shown]
	v_mov_b32_e32 v4, v15
	v_mov_b32_e32 v75, v81
	v_add_f32_e32 v49, v8, v11
	v_fma_f32 v11, v7, 2.0, -v48
	v_fma_f32 v7, v47, 2.0, -v82
	v_fmac_f32_e32 v4, 0xbf6c835e, v6
	v_mov_b32_e32 v5, v45
	v_fmac_f32_e32 v75, 0x3ec3ef15, v82
	v_fmac_f32_e32 v5, 0xbf6c835e, v7
	;; [unrolled: 1-line block ×3, first 2 shown]
	v_mov_b32_e32 v74, v80
	v_fmac_f32_e32 v75, 0x3f6c835e, v69
	v_add_f32_e32 v47, v10, v13
	v_mov_b32_e32 v50, v55
	v_mov_b32_e32 v51, v54
	v_fmac_f32_e32 v5, 0x3ec3ef15, v6
	v_fma_f32 v6, v15, 2.0, -v4
	v_fmac_f32_e32 v74, 0x3ec3ef15, v69
	v_fma_f32 v15, v81, 2.0, -v75
	v_mov_b32_e32 v81, v49
	v_sub_f32_e32 v46, v9, v14
	v_fmac_f32_e32 v50, 0x3f3504f3, v68
	v_fmac_f32_e32 v51, 0x3f3504f3, v58
	v_fmac_f32_e32 v74, 0xbf6c835e, v82
	v_fmac_f32_e32 v81, 0x3f3504f3, v47
	v_fma_f32 v12, v8, 2.0, -v49
	v_fma_f32 v53, v53, 2.0, -v85
	;; [unrolled: 1-line block ×3, first 2 shown]
	v_fmac_f32_e32 v50, 0xbf3504f3, v58
	v_fmac_f32_e32 v51, 0x3f3504f3, v68
	v_fma_f32 v14, v80, 2.0, -v74
	v_mov_b32_e32 v80, v48
	v_fmac_f32_e32 v81, 0x3f3504f3, v46
	v_fma_f32 v8, v9, 2.0, -v46
	v_fma_f32 v9, v10, 2.0, -v47
	;; [unrolled: 1-line block ×4, first 2 shown]
	v_mov_b32_e32 v76, v11
	v_mov_b32_e32 v77, v12
	v_mov_b32_e32 v78, v53
	v_mov_b32_e32 v79, v52
	v_fmac_f32_e32 v80, 0x3f3504f3, v46
	v_fma_f32 v46, v49, 2.0, -v81
	v_mov_b32_e32 v82, v85
	v_mov_b32_e32 v83, v86
	v_mul_u32_u24_e32 v49, 0xa0, v59
	v_fmac_f32_e32 v76, 0xbf3504f3, v8
	v_fmac_f32_e32 v77, 0xbf3504f3, v9
	;; [unrolled: 1-line block ×6, first 2 shown]
	v_or_b32_e32 v49, v49, v84
	v_fma_f32 v7, v45, 2.0, -v5
	v_fmac_f32_e32 v76, 0xbf3504f3, v9
	v_fmac_f32_e32 v77, 0x3f3504f3, v8
	;; [unrolled: 1-line block ×4, first 2 shown]
	v_sub_f32_e32 v72, v70, v57
	v_add_f32_e32 v73, v71, v56
	v_fmac_f32_e32 v80, 0xbf3504f3, v47
	v_fmac_f32_e32 v82, 0xbec3ef15, v51
	;; [unrolled: 1-line block ×3, first 2 shown]
	v_lshl_add_u32 v138, v49, 3, v133
	v_fma_f32 v8, v11, 2.0, -v76
	v_fma_f32 v9, v12, 2.0, -v77
	;; [unrolled: 1-line block ×9, first 2 shown]
	ds_write2_b64 v138, v[2:3], v[6:7] offset1:10
	ds_write2_b64 v138, v[8:9], v[10:11] offset0:20 offset1:30
	ds_write2_b64 v138, v[12:13], v[14:15] offset0:40 offset1:50
	;; [unrolled: 1-line block ×7, first 2 shown]
	s_waitcnt lgkmcnt(0)
	s_barrier
	ds_read2_b64 v[68:71], v129 offset1:160
	ds_read2_b64 v[92:95], v141 offset0:64 offset1:224
	ds_read2_b64 v[96:99], v142 offset1:160
	ds_read2_b64 v[88:91], v140 offset0:64 offset1:224
	ds_read2_b64 v[84:87], v139 offset1:160
	s_and_saveexec_b64 s[4:5], s[0:1]
	s_cbranch_execz .LBB0_9
; %bb.8:
	v_add_u32_e32 v0, 0x200, v129
	ds_read2_b64 v[76:79], v0 offset0:36 offset1:196
	v_add_u32_e32 v0, 0xc00, v129
	ds_read2_b64 v[72:75], v0 offset0:36 offset1:196
	;; [unrolled: 2-line block ×5, first 2 shown]
.LBB0_9:
	s_or_b64 exec, exec, s[4:5]
	v_subrev_u32_e32 v0, 60, v132
	v_cndmask_b32_e64 v0, v0, v44, s[0:1]
	v_mul_hi_i32_i24_e32 v1, 0x48, v0
	v_mul_i32_i24_e32 v0, 0x48, v0
	v_mov_b32_e32 v2, s3
	v_add_co_u32_e32 v123, vcc, s2, v0
	v_addc_co_u32_e32 v124, vcc, v2, v1, vcc
	v_mov_b32_e32 v0, s2
	s_movk_i32 s4, 0x48
	v_mov_b32_e32 v1, s3
	v_mad_u64_u32 v[0:1], s[2:3], v132, s4, v[0:1]
	global_load_dwordx4 v[12:15], v[123:124], off offset:1216
	global_load_dwordx4 v[4:7], v[123:124], off offset:1232
	;; [unrolled: 1-line block ×7, first 2 shown]
	global_load_dwordx2 v[127:128], v[0:1], off offset:1264
	s_nop 0
	global_load_dwordx4 v[0:3], v[123:124], off offset:1200
	s_nop 0
	global_load_dwordx2 v[123:124], v[123:124], off offset:1264
	s_mov_b32 s4, 0x3f737871
	s_mov_b32 s5, 0x3f167918
	s_mov_b32 s3, 0xbf167918
	s_mov_b32 s2, 0xbf737871
	s_waitcnt vmcnt(7) lgkmcnt(1)
	v_mul_f32_e32 v152, v66, v9
	s_waitcnt vmcnt(6)
	v_mul_f32_e32 v154, v70, v57
	s_waitcnt vmcnt(5)
	;; [unrolled: 2-line block ×3, first 2 shown]
	v_mul_f32_e32 v163, v89, v51
	v_mul_f32_e32 v153, v71, v57
	;; [unrolled: 1-line block ×4, first 2 shown]
	s_waitcnt vmcnt(1)
	v_mul_f32_e32 v172, v78, v1
	v_fmac_f32_e32 v146, v81, v14
	v_fmac_f32_e32 v154, v71, v56
	v_fma_f32 v71, v96, v54, -v159
	v_fma_f32 v81, v88, v50, -v163
	v_mul_f32_e32 v156, v92, v59
	s_waitcnt lgkmcnt(0)
	v_mul_f32_e32 v168, v84, v47
	v_mul_f32_e32 v171, v79, v1
	v_fmac_f32_e32 v172, v79, v0
	v_add_f32_e32 v79, v71, v81
	v_mul_f32_e32 v148, v82, v5
	v_mul_f32_e32 v155, v93, v59
	;; [unrolled: 1-line block ×7, first 2 shown]
	v_fmac_f32_e32 v156, v93, v58
	v_fmac_f32_e32 v168, v85, v46
	v_fma_f32 v79, -0.5, v79, v68
	v_mul_f32_e32 v147, v83, v5
	v_mul_f32_e32 v151, v67, v9
	;; [unrolled: 1-line block ×6, first 2 shown]
	v_fmac_f32_e32 v148, v83, v4
	v_fmac_f32_e32 v152, v67, v8
	v_fma_f32 v67, v92, v58, -v155
	v_fmac_f32_e32 v160, v97, v54
	v_fmac_f32_e32 v164, v89, v50
	;; [unrolled: 1-line block ×3, first 2 shown]
	v_fma_f32 v83, v84, v46, -v167
	v_fmac_f32_e32 v174, v73, v2
	v_mul_f32_e32 v73, v61, v11
	v_sub_f32_e32 v85, v156, v168
	v_mov_b32_e32 v91, v79
	v_fma_f32 v84, v86, v127, -v169
	v_fmac_f32_e32 v170, v87, v127
	v_fma_f32 v73, v60, v10, -v73
	v_mul_f32_e32 v60, v60, v11
	v_fmac_f32_e32 v91, 0x3f737871, v85
	v_sub_f32_e32 v86, v160, v164
	v_sub_f32_e32 v87, v67, v71
	;; [unrolled: 1-line block ×3, first 2 shown]
	v_fmac_f32_e32 v79, 0xbf737871, v85
	v_fmac_f32_e32 v60, v61, v10
	s_waitcnt vmcnt(0)
	v_mul_f32_e32 v61, v63, v124
	v_fmac_f32_e32 v91, 0x3f167918, v86
	v_add_f32_e32 v87, v87, v88
	v_fmac_f32_e32 v79, 0xbf167918, v86
	v_fma_f32 v61, v62, v123, -v61
	v_mul_f32_e32 v62, v62, v124
	v_fmac_f32_e32 v91, 0x3e9e377a, v87
	v_fmac_f32_e32 v79, 0x3e9e377a, v87
	v_add_f32_e32 v87, v67, v83
	v_fmac_f32_e32 v62, v63, v123
	v_add_f32_e32 v63, v68, v67
	v_fma_f32 v68, -0.5, v87, v68
	v_mov_b32_e32 v93, v68
	v_fmac_f32_e32 v93, 0xbf737871, v86
	v_fmac_f32_e32 v68, 0x3f737871, v86
	;; [unrolled: 1-line block ×4, first 2 shown]
	v_add_f32_e32 v85, v69, v156
	v_add_f32_e32 v85, v85, v160
	v_mul_f32_e32 v158, v94, v53
	v_add_f32_e32 v85, v85, v164
	v_mul_f32_e32 v157, v95, v53
	v_mul_f32_e32 v162, v98, v49
	v_fmac_f32_e32 v158, v95, v52
	v_add_f32_e32 v95, v85, v168
	v_add_f32_e32 v85, v160, v164
	v_mul_f32_e32 v161, v99, v49
	v_fmac_f32_e32 v162, v99, v48
	v_add_f32_e32 v63, v63, v71
	v_fma_f32 v99, -0.5, v85, v69
	v_add_f32_e32 v63, v63, v81
	v_sub_f32_e32 v87, v71, v67
	v_sub_f32_e32 v67, v67, v83
	v_mov_b32_e32 v97, v99
	v_add_f32_e32 v63, v63, v83
	v_sub_f32_e32 v88, v81, v83
	v_fmac_f32_e32 v97, 0xbf737871, v67
	v_sub_f32_e32 v71, v71, v81
	v_sub_f32_e32 v81, v156, v160
	;; [unrolled: 1-line block ×3, first 2 shown]
	v_fmac_f32_e32 v99, 0x3f737871, v67
	v_fmac_f32_e32 v97, 0xbf167918, v71
	v_add_f32_e32 v81, v81, v83
	v_fmac_f32_e32 v99, 0x3f167918, v71
	v_fmac_f32_e32 v97, 0x3e9e377a, v81
	;; [unrolled: 1-line block ×3, first 2 shown]
	v_add_f32_e32 v81, v156, v168
	v_mul_f32_e32 v143, v75, v13
	v_mul_f32_e32 v144, v74, v13
	v_fma_f32 v69, -0.5, v81, v69
	v_mul_f32_e32 v150, v64, v7
	v_fma_f32 v74, v74, v12, -v143
	v_fmac_f32_e32 v144, v75, v12
	v_fma_f32 v75, v80, v14, -v145
	v_fma_f32 v143, v82, v4, -v147
	;; [unrolled: 1-line block ×4, first 2 shown]
	v_mov_b32_e32 v145, v69
	v_mul_f32_e32 v149, v65, v7
	v_fmac_f32_e32 v150, v65, v6
	v_fma_f32 v65, v66, v8, -v151
	v_fma_f32 v66, v70, v56, -v153
	v_fmac_f32_e32 v145, 0x3f737871, v71
	v_sub_f32_e32 v81, v160, v156
	v_sub_f32_e32 v83, v164, v168
	v_fmac_f32_e32 v69, 0xbf737871, v71
	v_add_f32_e32 v71, v80, v82
	v_fmac_f32_e32 v145, 0xbf167918, v67
	v_add_f32_e32 v81, v81, v83
	v_fmac_f32_e32 v69, 0x3f167918, v67
	v_fma_f32 v71, -0.5, v71, v66
	v_fma_f32 v70, v94, v52, -v157
	v_add_f32_e32 v87, v87, v88
	v_fmac_f32_e32 v145, 0x3e9e377a, v81
	v_fmac_f32_e32 v69, 0x3e9e377a, v81
	v_sub_f32_e32 v81, v158, v170
	v_mov_b32_e32 v83, v71
	v_fmac_f32_e32 v93, 0x3e9e377a, v87
	v_fmac_f32_e32 v68, 0x3e9e377a, v87
	v_fmac_f32_e32 v83, 0x3f737871, v81
	v_sub_f32_e32 v85, v162, v166
	v_sub_f32_e32 v86, v70, v80
	;; [unrolled: 1-line block ×3, first 2 shown]
	v_fmac_f32_e32 v71, 0xbf737871, v81
	v_fmac_f32_e32 v83, 0x3f167918, v85
	v_add_f32_e32 v86, v86, v87
	v_fmac_f32_e32 v71, 0xbf167918, v85
	v_fmac_f32_e32 v83, 0x3e9e377a, v86
	;; [unrolled: 1-line block ×3, first 2 shown]
	v_add_f32_e32 v86, v70, v84
	v_add_f32_e32 v67, v66, v70
	v_fmac_f32_e32 v66, -0.5, v86
	v_mov_b32_e32 v87, v66
	v_fmac_f32_e32 v87, 0xbf737871, v85
	v_fmac_f32_e32 v66, 0x3f737871, v85
	v_fmac_f32_e32 v87, 0x3f167918, v81
	v_fmac_f32_e32 v66, 0xbf167918, v81
	v_add_f32_e32 v81, v154, v158
	v_add_f32_e32 v81, v81, v162
	;; [unrolled: 1-line block ×5, first 2 shown]
	v_fma_f32 v89, -0.5, v81, v154
	v_add_f32_e32 v67, v67, v80
	v_sub_f32_e32 v86, v80, v70
	v_sub_f32_e32 v70, v70, v84
	v_mov_b32_e32 v85, v89
	v_add_f32_e32 v67, v67, v82
	v_sub_f32_e32 v88, v82, v84
	v_fmac_f32_e32 v85, 0xbf737871, v70
	v_sub_f32_e32 v80, v80, v82
	v_sub_f32_e32 v81, v158, v162
	;; [unrolled: 1-line block ×3, first 2 shown]
	v_fmac_f32_e32 v89, 0x3f737871, v70
	v_fmac_f32_e32 v85, 0xbf167918, v80
	v_add_f32_e32 v81, v81, v82
	v_fmac_f32_e32 v89, 0x3f167918, v80
	v_fmac_f32_e32 v85, 0x3e9e377a, v81
	v_fmac_f32_e32 v89, 0x3e9e377a, v81
	v_add_f32_e32 v81, v158, v170
	v_fmac_f32_e32 v154, -0.5, v81
	v_mov_b32_e32 v90, v154
	v_add_f32_e32 v86, v86, v88
	v_fmac_f32_e32 v90, 0x3f737871, v80
	v_sub_f32_e32 v81, v162, v158
	v_sub_f32_e32 v82, v166, v170
	v_fmac_f32_e32 v87, 0x3e9e377a, v86
	v_fmac_f32_e32 v90, 0xbf167918, v70
	v_add_f32_e32 v81, v81, v82
	v_fmac_f32_e32 v154, 0xbf737871, v80
	v_fma_f32 v72, v72, v2, -v173
	v_add_f32_e32 v67, v67, v84
	v_fmac_f32_e32 v66, 0x3e9e377a, v86
	v_fmac_f32_e32 v90, 0x3e9e377a, v81
	;; [unrolled: 1-line block ×3, first 2 shown]
	v_mul_f32_e32 v151, 0xbf737871, v87
	v_fmac_f32_e32 v154, 0x3e9e377a, v81
	v_add_f32_e32 v80, v63, v67
	v_mul_f32_e32 v94, 0x3f737871, v90
	v_mul_f32_e32 v81, 0x3e9e377a, v66
	v_fmac_f32_e32 v151, 0x3e9e377a, v90
	v_sub_f32_e32 v90, v63, v67
	v_add_f32_e32 v63, v76, v72
	v_fma_f32 v64, v64, v6, -v149
	v_mul_f32_e32 v70, 0x3f167918, v85
	v_fma_f32 v96, v154, s4, -v81
	v_mul_f32_e32 v81, 0x3f4f1bbd, v71
	v_add_f32_e32 v63, v63, v75
	v_fmac_f32_e32 v70, 0x3f4f1bbd, v83
	v_fma_f32 v98, v89, s5, -v81
	v_mul_f32_e32 v89, 0x3f4f1bbd, v89
	v_add_f32_e32 v63, v63, v64
	v_add_f32_e32 v82, v91, v70
	v_fma_f32 v71, v71, s3, -v89
	v_sub_f32_e32 v92, v91, v70
	v_add_f32_e32 v70, v63, v73
	v_add_f32_e32 v63, v75, v64
	v_fmac_f32_e32 v94, 0x3e9e377a, v87
	v_mul_f32_e32 v149, 0xbf167918, v83
	v_mul_f32_e32 v87, 0x3e9e377a, v154
	v_add_f32_e32 v89, v99, v71
	v_sub_f32_e32 v99, v99, v71
	v_fma_f32 v71, -0.5, v63, v76
	v_add_f32_e32 v88, v79, v98
	v_fmac_f32_e32 v149, 0x3f4f1bbd, v85
	v_fma_f32 v66, v66, s2, -v87
	v_sub_f32_e32 v98, v79, v98
	v_sub_f32_e32 v63, v174, v60
	v_mov_b32_e32 v79, v71
	v_add_f32_e32 v84, v93, v94
	v_add_f32_e32 v86, v68, v96
	;; [unrolled: 1-line block ×4, first 2 shown]
	v_sub_f32_e32 v94, v93, v94
	v_sub_f32_e32 v96, v68, v96
	;; [unrolled: 1-line block ×4, first 2 shown]
	v_fmac_f32_e32 v79, 0x3f737871, v63
	v_sub_f32_e32 v66, v146, v150
	v_sub_f32_e32 v67, v72, v75
	;; [unrolled: 1-line block ×3, first 2 shown]
	v_fmac_f32_e32 v71, 0xbf737871, v63
	v_fmac_f32_e32 v79, 0x3f167918, v66
	v_add_f32_e32 v67, v67, v68
	v_fmac_f32_e32 v71, 0xbf167918, v66
	v_fmac_f32_e32 v79, 0x3e9e377a, v67
	;; [unrolled: 1-line block ×3, first 2 shown]
	v_add_f32_e32 v67, v72, v73
	v_fmac_f32_e32 v76, -0.5, v67
	v_add_f32_e32 v81, v95, v147
	v_add_f32_e32 v85, v145, v151
	v_sub_f32_e32 v91, v95, v147
	v_sub_f32_e32 v95, v145, v151
	v_mov_b32_e32 v145, v76
	v_fmac_f32_e32 v145, 0xbf737871, v66
	v_fmac_f32_e32 v76, 0x3f737871, v66
	;; [unrolled: 1-line block ×4, first 2 shown]
	v_add_f32_e32 v63, v77, v174
	v_add_f32_e32 v63, v63, v146
	;; [unrolled: 1-line block ×5, first 2 shown]
	v_sub_f32_e32 v67, v75, v72
	v_sub_f32_e32 v68, v64, v73
	v_fma_f32 v149, -0.5, v63, v77
	v_add_f32_e32 v67, v67, v68
	v_sub_f32_e32 v63, v72, v73
	v_mov_b32_e32 v73, v149
	v_fmac_f32_e32 v145, 0x3e9e377a, v67
	v_fmac_f32_e32 v76, 0x3e9e377a, v67
	v_fmac_f32_e32 v73, 0xbf737871, v63
	v_sub_f32_e32 v64, v75, v64
	v_sub_f32_e32 v66, v174, v146
	;; [unrolled: 1-line block ×3, first 2 shown]
	v_fmac_f32_e32 v149, 0x3f737871, v63
	v_fmac_f32_e32 v73, 0xbf167918, v64
	v_add_f32_e32 v66, v66, v67
	v_fmac_f32_e32 v149, 0x3f167918, v64
	v_fmac_f32_e32 v73, 0x3e9e377a, v66
	v_fmac_f32_e32 v149, 0x3e9e377a, v66
	v_add_f32_e32 v66, v174, v60
	v_fmac_f32_e32 v77, -0.5, v66
	v_mov_b32_e32 v75, v77
	v_fmac_f32_e32 v75, 0x3f737871, v64
	v_sub_f32_e32 v66, v146, v174
	v_sub_f32_e32 v60, v150, v60
	v_fmac_f32_e32 v77, 0xbf737871, v64
	v_fma_f32 v78, v78, v0, -v171
	v_fmac_f32_e32 v75, 0xbf167918, v63
	v_add_f32_e32 v60, v66, v60
	v_fmac_f32_e32 v77, 0x3f167918, v63
	v_fmac_f32_e32 v75, 0x3e9e377a, v60
	;; [unrolled: 1-line block ×3, first 2 shown]
	v_add_f32_e32 v60, v78, v74
	v_add_f32_e32 v60, v60, v143
	v_add_f32_e32 v60, v60, v65
	v_add_f32_e32 v72, v60, v61
	v_add_f32_e32 v60, v143, v65
	v_fma_f32 v69, -0.5, v60, v78
	v_sub_f32_e32 v60, v144, v62
	v_mov_b32_e32 v63, v69
	v_fmac_f32_e32 v63, 0x3f737871, v60
	v_sub_f32_e32 v64, v148, v152
	v_sub_f32_e32 v66, v74, v143
	;; [unrolled: 1-line block ×3, first 2 shown]
	v_fmac_f32_e32 v69, 0xbf737871, v60
	v_fmac_f32_e32 v63, 0x3f167918, v64
	v_add_f32_e32 v66, v66, v67
	v_fmac_f32_e32 v69, 0xbf167918, v64
	v_fmac_f32_e32 v63, 0x3e9e377a, v66
	;; [unrolled: 1-line block ×3, first 2 shown]
	v_add_f32_e32 v66, v74, v61
	v_fmac_f32_e32 v78, -0.5, v66
	v_mov_b32_e32 v67, v78
	v_fmac_f32_e32 v67, 0xbf737871, v64
	v_fmac_f32_e32 v78, 0x3f737871, v64
	;; [unrolled: 1-line block ×4, first 2 shown]
	v_add_f32_e32 v60, v172, v144
	v_add_f32_e32 v60, v60, v148
	;; [unrolled: 1-line block ×5, first 2 shown]
	v_fma_f32 v150, -0.5, v60, v172
	v_sub_f32_e32 v66, v143, v74
	v_sub_f32_e32 v60, v74, v61
	v_mov_b32_e32 v74, v150
	v_sub_f32_e32 v68, v65, v61
	v_fmac_f32_e32 v74, 0xbf737871, v60
	v_sub_f32_e32 v61, v143, v65
	v_sub_f32_e32 v64, v144, v148
	;; [unrolled: 1-line block ×3, first 2 shown]
	v_fmac_f32_e32 v150, 0x3f737871, v60
	v_fmac_f32_e32 v74, 0xbf167918, v61
	v_add_f32_e32 v64, v64, v65
	v_fmac_f32_e32 v150, 0x3f167918, v61
	v_fmac_f32_e32 v74, 0x3e9e377a, v64
	v_fmac_f32_e32 v150, 0x3e9e377a, v64
	v_add_f32_e32 v64, v144, v62
	v_fmac_f32_e32 v172, -0.5, v64
	v_mov_b32_e32 v65, v172
	v_fmac_f32_e32 v65, 0x3f737871, v61
	v_sub_f32_e32 v64, v148, v144
	v_sub_f32_e32 v62, v152, v62
	v_add_f32_e32 v66, v66, v68
	v_fmac_f32_e32 v65, 0xbf167918, v60
	v_add_f32_e32 v62, v64, v62
	v_fmac_f32_e32 v172, 0xbf737871, v61
	v_fmac_f32_e32 v78, 0x3e9e377a, v66
	;; [unrolled: 1-line block ×6, first 2 shown]
	v_mul_f32_e32 v144, 0x3f737871, v65
	v_mul_f32_e32 v61, 0x3e9e377a, v78
	;; [unrolled: 1-line block ×4, first 2 shown]
	v_fmac_f32_e32 v144, 0x3e9e377a, v67
	v_fma_f32 v148, v172, s4, -v61
	v_mul_f32_e32 v61, 0x3f4f1bbd, v69
	v_fmac_f32_e32 v152, 0x3f4f1bbd, v74
	v_mul_f32_e32 v153, 0xbf737871, v67
	v_mul_f32_e32 v67, 0x3e9e377a, v172
	;; [unrolled: 1-line block ×3, first 2 shown]
	v_fmac_f32_e32 v143, 0x3f4f1bbd, v63
	v_fma_f32 v151, v150, s5, -v61
	v_fmac_f32_e32 v153, 0x3e9e377a, v65
	v_fma_f32 v154, v78, s2, -v67
	v_fma_f32 v150, v69, s3, -v74
	v_add_f32_e32 v60, v70, v72
	v_add_f32_e32 v62, v79, v143
	;; [unrolled: 1-line block ×10, first 2 shown]
	v_sub_f32_e32 v70, v70, v72
	v_sub_f32_e32 v72, v79, v143
	v_sub_f32_e32 v74, v145, v144
	v_sub_f32_e32 v76, v76, v148
	v_sub_f32_e32 v78, v71, v151
	v_sub_f32_e32 v71, v147, v146
	v_sub_f32_e32 v73, v73, v152
	v_sub_f32_e32 v75, v75, v153
	v_sub_f32_e32 v77, v77, v154
	v_sub_f32_e32 v79, v149, v150
	ds_write2_b64 v129, v[80:81], v[82:83] offset1:160
	ds_write2_b64 v141, v[84:85], v[86:87] offset0:64 offset1:224
	ds_write2_b64 v142, v[88:89], v[90:91] offset1:160
	ds_write2_b64 v140, v[92:93], v[94:95] offset0:64 offset1:224
	ds_write2_b64 v139, v[96:97], v[98:99] offset1:160
	s_and_saveexec_b64 s[2:3], s[0:1]
	s_cbranch_execz .LBB0_11
; %bb.10:
	v_add_u32_e32 v80, 0x200, v129
	ds_write2_b64 v80, v[60:61], v[62:63] offset0:36 offset1:196
	v_add_u32_e32 v80, 0xc00, v129
	ds_write2_b64 v80, v[64:65], v[66:67] offset0:36 offset1:196
	;; [unrolled: 2-line block ×5, first 2 shown]
.LBB0_11:
	s_or_b64 exec, exec, s[2:3]
	s_add_u32 s2, s14, 0x3200
	s_addc_u32 s3, s15, 0
	v_lshlrev_b32_e32 v80, 3, v132
	s_waitcnt lgkmcnt(0)
	s_barrier
	global_load_dwordx2 v[89:90], v80, s[2:3]
	global_load_dwordx2 v[93:94], v80, s[2:3] offset:1280
	global_load_dwordx2 v[97:98], v80, s[2:3] offset:2560
	;; [unrolled: 1-line block ×3, first 2 shown]
	global_load_dwordx2 v[161:162], v134, s[2:3]
	s_nop 0
	global_load_dwordx2 v[134:135], v135, s[2:3]
	v_mov_b32_e32 v81, s3
	v_add_co_u32_e32 v80, vcc, s2, v80
	s_movk_i32 s4, 0x1000
	v_addc_co_u32_e32 v81, vcc, 0, v81, vcc
	v_add_co_u32_e32 v84, vcc, s4, v80
	s_movk_i32 s5, 0x2000
	v_addc_co_u32_e32 v85, vcc, 0, v81, vcc
	v_add_co_u32_e32 v82, vcc, s5, v80
	v_addc_co_u32_e32 v83, vcc, 0, v81, vcc
	global_load_dwordx2 v[163:164], v[84:85], off offset:2304
	global_load_dwordx2 v[165:166], v[84:85], off offset:3584
	global_load_dwordx2 v[167:168], v[82:83], off offset:768
	global_load_dwordx2 v[169:170], v[82:83], off offset:3328
	ds_read2_b64 v[139:142], v129 offset1:160
	v_add_u32_e32 v86, 0x800, v129
	v_add_u32_e32 v88, 0x1400, v129
	;; [unrolled: 1-line block ×4, first 2 shown]
	ds_read2_b64 v[143:146], v86 offset0:64 offset1:224
	ds_read2_b64 v[147:150], v88 offset1:160
	ds_read2_b64 v[151:154], v92 offset0:64 offset1:224
	ds_read2_b64 v[155:158], v96 offset1:160
	s_waitcnt vmcnt(9) lgkmcnt(4)
	v_mul_f32_e32 v87, v140, v90
	v_mul_f32_e32 v91, v139, v90
	s_waitcnt vmcnt(8)
	v_mul_f32_e32 v171, v142, v94
	v_mul_f32_e32 v95, v141, v94
	s_waitcnt vmcnt(7) lgkmcnt(3)
	v_mul_f32_e32 v173, v144, v98
	v_mul_f32_e32 v99, v143, v98
	s_waitcnt vmcnt(6)
	v_mul_f32_e32 v174, v146, v160
	v_mul_f32_e32 v172, v145, v160
	v_fma_f32 v90, v139, v89, -v87
	v_fmac_f32_e32 v91, v140, v89
	v_fma_f32 v94, v141, v93, -v171
	v_fmac_f32_e32 v95, v142, v93
	s_waitcnt vmcnt(5) lgkmcnt(2)
	v_mul_f32_e32 v175, v148, v162
	v_mul_f32_e32 v160, v147, v162
	v_fma_f32 v98, v143, v97, -v173
	v_fmac_f32_e32 v99, v144, v97
	v_fma_f32 v171, v145, v159, -v174
	v_fmac_f32_e32 v172, v146, v159
	ds_write2_b64 v129, v[90:91], v[94:95] offset1:160
	ds_write2_b64 v86, v[98:99], v[171:172] offset0:64 offset1:224
	s_waitcnt vmcnt(4) lgkmcnt(2)
	v_mul_f32_e32 v176, v156, v135
	s_waitcnt vmcnt(3)
	v_mul_f32_e32 v87, v150, v164
	v_mul_f32_e32 v90, v149, v164
	;; [unrolled: 1-line block ×3, first 2 shown]
	v_fma_f32 v159, v147, v161, -v175
	v_fmac_f32_e32 v160, v148, v161
	s_waitcnt vmcnt(2)
	v_mul_f32_e32 v91, v152, v166
	v_mul_f32_e32 v94, v151, v166
	s_waitcnt vmcnt(1)
	v_mul_f32_e32 v95, v154, v168
	v_mul_f32_e32 v98, v153, v168
	;; [unrolled: 3-line block ×3, first 2 shown]
	v_fma_f32 v89, v149, v163, -v87
	v_fmac_f32_e32 v90, v150, v163
	v_fma_f32 v161, v155, v134, -v176
	v_fmac_f32_e32 v162, v156, v134
	;; [unrolled: 2-line block ×5, first 2 shown]
	ds_write2_b64 v88, v[159:160], v[89:90] offset1:160
	ds_write2_b64 v92, v[93:94], v[97:98] offset0:64 offset1:224
	ds_write2_b64 v96, v[161:162], v[134:135] offset1:160
	s_and_saveexec_b64 s[2:3], s[0:1]
	s_cbranch_execz .LBB0_13
; %bb.12:
	global_load_dwordx2 v[89:90], v[80:81], off offset:800
	global_load_dwordx2 v[93:94], v[80:81], off offset:2080
	;; [unrolled: 1-line block ×5, first 2 shown]
	s_nop 0
	global_load_dwordx2 v[84:85], v[84:85], off offset:3104
	s_nop 0
	global_load_dwordx2 v[157:158], v[82:83], off offset:288
	global_load_dwordx2 v[159:160], v[82:83], off offset:1568
	global_load_dwordx2 v[161:162], v[82:83], off offset:2848
	v_add_co_u32_e32 v80, vcc, 0x3000, v80
	v_addc_co_u32_e32 v81, vcc, 0, v81, vcc
	global_load_dwordx2 v[163:164], v[80:81], off offset:32
	v_add_u32_e32 v87, 0x200, v129
	v_add_u32_e32 v167, 0xc00, v129
	;; [unrolled: 1-line block ×5, first 2 shown]
	ds_read2_b64 v[80:83], v87 offset0:36 offset1:196
	ds_read2_b64 v[139:142], v167 offset0:36 offset1:196
	;; [unrolled: 1-line block ×5, first 2 shown]
	s_waitcnt vmcnt(9) lgkmcnt(4)
	v_mul_f32_e32 v165, v81, v90
	v_mul_f32_e32 v91, v80, v90
	s_waitcnt vmcnt(8)
	v_mul_f32_e32 v171, v83, v94
	v_mul_f32_e32 v95, v82, v94
	s_waitcnt vmcnt(6) lgkmcnt(3)
	v_mul_f32_e32 v173, v142, v135
	v_mul_f32_e32 v166, v141, v135
	s_waitcnt vmcnt(5) lgkmcnt(2)
	v_mul_f32_e32 v174, v144, v156
	v_mul_f32_e32 v135, v143, v156
	s_waitcnt vmcnt(4)
	v_mul_f32_e32 v175, v146, v85
	v_mul_f32_e32 v156, v145, v85
	s_waitcnt vmcnt(3) lgkmcnt(1)
	v_mul_f32_e32 v176, v148, v158
	v_mul_f32_e32 v85, v147, v158
	s_waitcnt vmcnt(2)
	v_mul_f32_e32 v177, v150, v160
	v_mul_f32_e32 v158, v149, v160
	s_waitcnt vmcnt(1) lgkmcnt(0)
	v_mul_f32_e32 v178, v152, v162
	v_mul_f32_e32 v160, v151, v162
	v_fma_f32 v90, v80, v89, -v165
	v_fmac_f32_e32 v91, v81, v89
	s_waitcnt vmcnt(0)
	v_mul_f32_e32 v80, v154, v164
	v_mul_f32_e32 v81, v153, v164
	;; [unrolled: 1-line block ×4, first 2 shown]
	v_fma_f32 v94, v82, v93, -v171
	v_fmac_f32_e32 v95, v83, v93
	v_fma_f32 v165, v141, v134, -v173
	v_fmac_f32_e32 v166, v142, v134
	;; [unrolled: 2-line block ×9, first 2 shown]
	ds_write2_b64 v87, v[90:91], v[94:95] offset0:36 offset1:196
	ds_write2_b64 v167, v[98:99], v[165:166] offset0:36 offset1:196
	ds_write2_b64 v168, v[134:135], v[155:156] offset0:36 offset1:196
	ds_write2_b64 v169, v[84:85], v[157:158] offset0:36 offset1:196
	ds_write2_b64 v170, v[159:160], v[80:81] offset0:36 offset1:196
.LBB0_13:
	s_or_b64 exec, exec, s[2:3]
	s_waitcnt lgkmcnt(0)
	s_barrier
	ds_read2_b64 v[80:83], v129 offset1:160
	ds_read2_b64 v[84:87], v86 offset0:64 offset1:224
	ds_read2_b64 v[88:91], v88 offset1:160
	ds_read2_b64 v[92:95], v92 offset0:64 offset1:224
	ds_read2_b64 v[96:99], v96 offset1:160
	s_and_saveexec_b64 s[2:3], s[0:1]
	s_cbranch_execz .LBB0_15
; %bb.14:
	v_add_u32_e32 v60, 0x200, v129
	v_add_u32_e32 v64, 0xc00, v129
	v_add_u32_e32 v68, 0x1600, v129
	v_add_u32_e32 v72, 0x2000, v129
	v_add_u32_e32 v76, 0x2a00, v129
	ds_read2_b64 v[60:63], v60 offset0:36 offset1:196
	ds_read2_b64 v[64:67], v64 offset0:36 offset1:196
	;; [unrolled: 1-line block ×5, first 2 shown]
.LBB0_15:
	s_or_b64 exec, exec, s[2:3]
	s_waitcnt lgkmcnt(1)
	v_add_f32_e32 v135, v88, v92
	v_fma_f32 v135, -0.5, v135, v80
	s_waitcnt lgkmcnt(0)
	v_sub_f32_e32 v139, v85, v97
	v_mov_b32_e32 v140, v135
	v_fmac_f32_e32 v140, 0xbf737871, v139
	v_sub_f32_e32 v141, v89, v93
	v_sub_f32_e32 v142, v84, v88
	;; [unrolled: 1-line block ×3, first 2 shown]
	v_fmac_f32_e32 v135, 0x3f737871, v139
	v_fmac_f32_e32 v140, 0xbf167918, v141
	v_add_f32_e32 v142, v142, v143
	v_fmac_f32_e32 v135, 0x3f167918, v141
	v_fmac_f32_e32 v140, 0x3e9e377a, v142
	;; [unrolled: 1-line block ×3, first 2 shown]
	v_add_f32_e32 v142, v84, v96
	v_add_f32_e32 v134, v80, v84
	v_fma_f32 v80, -0.5, v142, v80
	v_mov_b32_e32 v152, v80
	v_add_f32_e32 v134, v134, v88
	v_fmac_f32_e32 v152, 0x3f737871, v141
	v_fmac_f32_e32 v80, 0xbf737871, v141
	v_add_f32_e32 v141, v89, v93
	v_add_f32_e32 v134, v134, v92
	v_fma_f32 v160, -0.5, v141, v81
	v_add_f32_e32 v134, v134, v96
	v_sub_f32_e32 v142, v88, v84
	v_sub_f32_e32 v143, v92, v96
	;; [unrolled: 1-line block ×3, first 2 shown]
	v_mov_b32_e32 v96, v160
	v_fmac_f32_e32 v96, 0x3f737871, v84
	v_sub_f32_e32 v88, v88, v92
	v_sub_f32_e32 v92, v85, v89
	;; [unrolled: 1-line block ×3, first 2 shown]
	v_fmac_f32_e32 v160, 0xbf737871, v84
	v_fmac_f32_e32 v96, 0x3f167918, v88
	v_add_f32_e32 v92, v92, v141
	v_fmac_f32_e32 v160, 0xbf167918, v88
	v_fmac_f32_e32 v96, 0x3e9e377a, v92
	;; [unrolled: 1-line block ×3, first 2 shown]
	v_add_f32_e32 v92, v85, v97
	v_fmac_f32_e32 v152, 0xbf167918, v139
	v_fmac_f32_e32 v80, 0x3f167918, v139
	v_add_f32_e32 v139, v81, v85
	v_fma_f32 v81, -0.5, v92, v81
	v_mov_b32_e32 v92, v81
	v_add_f32_e32 v139, v139, v89
	v_fmac_f32_e32 v92, 0xbf737871, v88
	v_sub_f32_e32 v85, v89, v85
	v_sub_f32_e32 v89, v93, v97
	v_fmac_f32_e32 v81, 0x3f737871, v88
	v_fmac_f32_e32 v92, 0x3f167918, v84
	v_add_f32_e32 v85, v85, v89
	v_fmac_f32_e32 v81, 0xbf167918, v84
	v_fmac_f32_e32 v92, 0x3e9e377a, v85
	;; [unrolled: 1-line block ×3, first 2 shown]
	v_add_f32_e32 v85, v90, v94
	v_fma_f32 v85, -0.5, v85, v82
	v_add_f32_e32 v139, v139, v93
	v_sub_f32_e32 v88, v87, v99
	v_mov_b32_e32 v89, v85
	v_add_f32_e32 v139, v139, v97
	v_fmac_f32_e32 v89, 0xbf737871, v88
	v_sub_f32_e32 v93, v91, v95
	v_sub_f32_e32 v97, v86, v90
	;; [unrolled: 1-line block ×3, first 2 shown]
	v_fmac_f32_e32 v85, 0x3f737871, v88
	v_fmac_f32_e32 v89, 0xbf167918, v93
	v_add_f32_e32 v97, v97, v141
	v_fmac_f32_e32 v85, 0x3f167918, v93
	v_fmac_f32_e32 v89, 0x3e9e377a, v97
	;; [unrolled: 1-line block ×3, first 2 shown]
	v_add_f32_e32 v97, v86, v98
	v_add_f32_e32 v84, v82, v86
	v_fma_f32 v82, -0.5, v97, v82
	v_mov_b32_e32 v97, v82
	v_add_f32_e32 v142, v142, v143
	v_add_f32_e32 v84, v84, v90
	v_fmac_f32_e32 v97, 0x3f737871, v93
	v_fmac_f32_e32 v82, 0xbf737871, v93
	v_add_f32_e32 v93, v91, v95
	v_fmac_f32_e32 v152, 0x3e9e377a, v142
	v_fmac_f32_e32 v80, 0x3e9e377a, v142
	v_add_f32_e32 v84, v84, v94
	v_sub_f32_e32 v141, v90, v86
	v_sub_f32_e32 v142, v94, v98
	v_fma_f32 v93, -0.5, v93, v83
	v_add_f32_e32 v84, v84, v98
	v_fmac_f32_e32 v97, 0xbf167918, v88
	v_add_f32_e32 v141, v141, v142
	v_fmac_f32_e32 v82, 0x3f167918, v88
	v_sub_f32_e32 v86, v86, v98
	v_mov_b32_e32 v98, v93
	v_fmac_f32_e32 v97, 0x3e9e377a, v141
	v_fmac_f32_e32 v82, 0x3e9e377a, v141
	;; [unrolled: 1-line block ×3, first 2 shown]
	v_sub_f32_e32 v90, v90, v94
	v_sub_f32_e32 v94, v87, v91
	;; [unrolled: 1-line block ×3, first 2 shown]
	v_fmac_f32_e32 v93, 0xbf737871, v86
	v_fmac_f32_e32 v98, 0x3f167918, v90
	v_add_f32_e32 v94, v94, v141
	v_fmac_f32_e32 v93, 0xbf167918, v90
	v_fmac_f32_e32 v98, 0x3e9e377a, v94
	v_fmac_f32_e32 v93, 0x3e9e377a, v94
	v_add_f32_e32 v94, v87, v99
	v_add_f32_e32 v88, v83, v87
	v_fmac_f32_e32 v83, -0.5, v94
	v_add_f32_e32 v88, v88, v91
	v_mov_b32_e32 v94, v83
	v_sub_f32_e32 v87, v91, v87
	v_sub_f32_e32 v91, v95, v99
	v_fmac_f32_e32 v83, 0x3f737871, v90
	v_add_f32_e32 v87, v87, v91
	v_fmac_f32_e32 v83, 0xbf167918, v86
	v_fmac_f32_e32 v94, 0xbf737871, v90
	;; [unrolled: 1-line block ×4, first 2 shown]
	v_mul_f32_e32 v86, 0xbf167918, v98
	v_mul_f32_e32 v90, 0xbf737871, v83
	v_fmac_f32_e32 v94, 0x3e9e377a, v87
	v_fmac_f32_e32 v86, 0x3f4f1bbd, v89
	;; [unrolled: 1-line block ×3, first 2 shown]
	v_mul_f32_e32 v89, 0x3f167918, v89
	v_add_f32_e32 v88, v88, v95
	v_mul_f32_e32 v87, 0xbf737871, v94
	v_add_f32_e32 v147, v80, v90
	v_fmac_f32_e32 v89, 0x3f4f1bbd, v98
	v_mul_f32_e32 v83, 0xbe9e377a, v83
	v_sub_f32_e32 v157, v80, v90
	v_add_f32_e32 v80, v72, v68
	v_add_f32_e32 v88, v88, v99
	v_fmac_f32_e32 v87, 0x3e9e377a, v97
	v_add_f32_e32 v144, v96, v89
	v_fmac_f32_e32 v83, 0x3f737871, v82
	v_mul_f32_e32 v82, 0xbf4f1bbd, v93
	v_sub_f32_e32 v154, v96, v89
	v_fma_f32 v89, -0.5, v80, v60
	v_add_f32_e32 v145, v152, v87
	v_add_f32_e32 v142, v139, v88
	v_fmac_f32_e32 v82, 0x3f167918, v85
	v_sub_f32_e32 v155, v152, v87
	v_sub_f32_e32 v152, v139, v88
	;; [unrolled: 1-line block ×3, first 2 shown]
	v_mov_b32_e32 v88, v89
	v_add_f32_e32 v148, v81, v83
	v_add_f32_e32 v150, v160, v82
	v_sub_f32_e32 v158, v81, v83
	v_sub_f32_e32 v160, v160, v82
	v_fmac_f32_e32 v88, 0xbf737871, v80
	v_sub_f32_e32 v81, v69, v73
	v_sub_f32_e32 v82, v64, v68
	v_sub_f32_e32 v83, v76, v72
	v_fmac_f32_e32 v89, 0x3f737871, v80
	v_mul_f32_e32 v91, 0xbf167918, v93
	v_fmac_f32_e32 v88, 0xbf167918, v81
	v_add_f32_e32 v82, v83, v82
	v_fmac_f32_e32 v89, 0x3f167918, v81
	v_fmac_f32_e32 v91, 0xbf4f1bbd, v85
	;; [unrolled: 1-line block ×4, first 2 shown]
	v_add_f32_e32 v82, v76, v64
	v_add_f32_e32 v149, v135, v91
	v_sub_f32_e32 v159, v135, v91
	v_fma_f32 v91, -0.5, v82, v60
	v_mov_b32_e32 v90, v91
	v_fmac_f32_e32 v90, 0x3f737871, v81
	v_fmac_f32_e32 v91, 0xbf737871, v81
	v_mul_f32_e32 v94, 0x3e9e377a, v94
	v_fmac_f32_e32 v90, 0xbf167918, v80
	v_fmac_f32_e32 v91, 0x3f167918, v80
	v_add_f32_e32 v80, v73, v69
	v_fmac_f32_e32 v94, 0x3f737871, v97
	v_sub_f32_e32 v82, v68, v64
	v_sub_f32_e32 v83, v72, v76
	v_fma_f32 v93, -0.5, v80, v61
	v_add_f32_e32 v146, v92, v94
	v_sub_f32_e32 v156, v92, v94
	v_add_f32_e32 v82, v83, v82
	v_sub_f32_e32 v80, v64, v76
	v_mov_b32_e32 v92, v93
	v_fmac_f32_e32 v90, 0x3e9e377a, v82
	v_fmac_f32_e32 v91, 0x3e9e377a, v82
	;; [unrolled: 1-line block ×3, first 2 shown]
	v_sub_f32_e32 v81, v68, v72
	v_sub_f32_e32 v82, v65, v69
	;; [unrolled: 1-line block ×3, first 2 shown]
	v_fmac_f32_e32 v93, 0xbf737871, v80
	v_fmac_f32_e32 v92, 0x3f167918, v81
	v_add_f32_e32 v82, v83, v82
	v_fmac_f32_e32 v93, 0xbf167918, v81
	v_fmac_f32_e32 v92, 0x3e9e377a, v82
	;; [unrolled: 1-line block ×3, first 2 shown]
	v_add_f32_e32 v82, v77, v65
	v_fma_f32 v95, -0.5, v82, v61
	v_mov_b32_e32 v94, v95
	v_fmac_f32_e32 v94, 0xbf737871, v81
	v_fmac_f32_e32 v95, 0x3f737871, v81
	;; [unrolled: 1-line block ×3, first 2 shown]
	v_sub_f32_e32 v82, v69, v65
	v_sub_f32_e32 v83, v73, v77
	v_fmac_f32_e32 v95, 0xbf167918, v80
	v_add_f32_e32 v80, v70, v74
	v_add_f32_e32 v82, v83, v82
	v_fma_f32 v80, -0.5, v80, v62
	v_fmac_f32_e32 v94, 0x3e9e377a, v82
	v_fmac_f32_e32 v95, 0x3e9e377a, v82
	v_sub_f32_e32 v81, v67, v79
	v_mov_b32_e32 v82, v80
	v_add_f32_e32 v141, v134, v84
	v_sub_f32_e32 v151, v134, v84
	v_fmac_f32_e32 v82, 0xbf737871, v81
	v_sub_f32_e32 v83, v71, v75
	v_sub_f32_e32 v84, v66, v70
	;; [unrolled: 1-line block ×3, first 2 shown]
	v_fmac_f32_e32 v80, 0x3f737871, v81
	v_fmac_f32_e32 v82, 0xbf167918, v83
	v_add_f32_e32 v84, v85, v84
	v_fmac_f32_e32 v80, 0x3f167918, v83
	v_fmac_f32_e32 v82, 0x3e9e377a, v84
	;; [unrolled: 1-line block ×3, first 2 shown]
	v_add_f32_e32 v84, v78, v66
	v_fma_f32 v84, -0.5, v84, v62
	v_mov_b32_e32 v85, v84
	v_fmac_f32_e32 v85, 0x3f737871, v83
	v_fmac_f32_e32 v84, 0xbf737871, v83
	v_add_f32_e32 v143, v140, v86
	v_sub_f32_e32 v153, v140, v86
	v_fmac_f32_e32 v85, 0xbf167918, v81
	v_sub_f32_e32 v86, v70, v66
	v_sub_f32_e32 v87, v74, v78
	v_fmac_f32_e32 v84, 0x3f167918, v81
	v_add_f32_e32 v81, v71, v75
	v_add_f32_e32 v86, v87, v86
	v_fma_f32 v81, -0.5, v81, v63
	v_fmac_f32_e32 v85, 0x3e9e377a, v86
	v_fmac_f32_e32 v84, 0x3e9e377a, v86
	v_sub_f32_e32 v83, v66, v78
	v_mov_b32_e32 v86, v81
	v_fmac_f32_e32 v86, 0x3f737871, v83
	v_sub_f32_e32 v87, v70, v74
	v_sub_f32_e32 v96, v67, v71
	;; [unrolled: 1-line block ×3, first 2 shown]
	v_fmac_f32_e32 v81, 0xbf737871, v83
	v_fmac_f32_e32 v86, 0x3f167918, v87
	v_add_f32_e32 v96, v97, v96
	v_fmac_f32_e32 v81, 0xbf167918, v87
	v_fmac_f32_e32 v86, 0x3e9e377a, v96
	;; [unrolled: 1-line block ×3, first 2 shown]
	v_add_f32_e32 v96, v79, v67
	v_fma_f32 v139, -0.5, v96, v63
	v_mov_b32_e32 v135, v139
	v_fmac_f32_e32 v135, 0xbf737871, v87
	v_sub_f32_e32 v96, v71, v67
	v_sub_f32_e32 v97, v75, v79
	v_fmac_f32_e32 v139, 0x3f737871, v87
	v_fmac_f32_e32 v135, 0x3f167918, v83
	v_add_f32_e32 v96, v97, v96
	v_fmac_f32_e32 v139, 0xbf167918, v83
	v_fmac_f32_e32 v135, 0x3e9e377a, v96
	;; [unrolled: 1-line block ×3, first 2 shown]
	v_mul_f32_e32 v96, 0xbf167918, v86
	v_mul_f32_e32 v97, 0xbf737871, v135
	;; [unrolled: 1-line block ×8, first 2 shown]
	v_fmac_f32_e32 v96, 0x3f4f1bbd, v82
	v_fmac_f32_e32 v97, 0x3e9e377a, v85
	v_fmac_f32_e32 v98, 0xbe9e377a, v84
	v_fmac_f32_e32 v99, 0xbf4f1bbd, v80
	v_fmac_f32_e32 v134, 0x3f167918, v82
	v_fmac_f32_e32 v135, 0x3f737871, v85
	v_fmac_f32_e32 v139, 0x3f737871, v84
	v_fmac_f32_e32 v140, 0x3f167918, v80
	v_sub_f32_e32 v80, v88, v96
	v_sub_f32_e32 v82, v90, v97
	;; [unrolled: 1-line block ×8, first 2 shown]
	s_barrier
	ds_write_b128 v137, v[141:144]
	ds_write_b128 v137, v[145:148] offset:16
	ds_write_b128 v137, v[149:152] offset:32
	ds_write_b128 v137, v[153:156] offset:48
	ds_write_b128 v137, v[157:160] offset:64
	s_and_saveexec_b64 s[2:3], s[0:1]
	s_cbranch_execz .LBB0_17
; %bb.16:
	v_add_f32_e32 v61, v65, v61
	v_add_f32_e32 v60, v64, v60
	;; [unrolled: 1-line block ×16, first 2 shown]
	v_sub_f32_e32 v63, v69, v73
	v_sub_f32_e32 v62, v68, v72
	v_add_f32_e32 v71, v92, v134
	v_add_f32_e32 v69, v73, v69
	;; [unrolled: 1-line block ×4, first 2 shown]
	v_lshl_add_u32 v72, v136, 3, v133
	v_add_f32_e32 v61, v93, v140
	v_add_f32_e32 v67, v95, v139
	;; [unrolled: 1-line block ×6, first 2 shown]
	ds_write_b128 v72, v[68:71]
	ds_write_b128 v72, v[64:67] offset:16
	ds_write_b128 v72, v[60:63] offset:32
	;; [unrolled: 1-line block ×4, first 2 shown]
.LBB0_17:
	s_or_b64 exec, exec, s[2:3]
	s_waitcnt lgkmcnt(0)
	s_barrier
	ds_read2_b64 v[60:63], v129 offset1:100
	v_add_u32_e32 v64, 0x400, v129
	ds_read2_b64 v[67:70], v64 offset0:72 offset1:172
	v_add_u32_e32 v64, 0x800, v129
	ds_read2_b64 v[71:74], v64 offset0:144 offset1:244
	;; [unrolled: 2-line block ×3, first 2 shown]
	s_waitcnt lgkmcnt(3)
	v_mul_f32_e32 v79, v37, v63
	v_mul_f32_e32 v37, v37, v62
	v_add_u32_e32 v65, 0x1800, v129
	v_fmac_f32_e32 v79, v36, v62
	v_fma_f32 v36, v36, v63, -v37
	s_waitcnt lgkmcnt(2)
	v_mul_f32_e32 v37, v39, v68
	v_mul_f32_e32 v39, v39, v67
	ds_read2_b64 v[88:91], v65 offset0:32 offset1:132
	v_fmac_f32_e32 v37, v38, v67
	v_fma_f32 v38, v38, v68, -v39
	v_mul_f32_e32 v39, v29, v70
	v_mul_f32_e32 v29, v29, v69
	v_add_u32_e32 v65, 0x1c00, v129
	v_fmac_f32_e32 v39, v28, v69
	v_fma_f32 v28, v28, v70, -v29
	s_waitcnt lgkmcnt(2)
	v_mul_f32_e32 v29, v31, v72
	v_mul_f32_e32 v31, v31, v71
	ds_read2_b64 v[92:95], v65 offset0:104 offset1:204
	v_fmac_f32_e32 v29, v30, v71
	v_fma_f32 v30, v30, v72, -v31
	;; [unrolled: 11-line block ×4, first 2 shown]
	v_mul_f32_e32 v19, v41, v91
	v_mul_f32_e32 v41, v41, v90
	v_fmac_f32_e32 v19, v40, v90
	v_fma_f32 v40, v40, v91, -v41
	s_waitcnt lgkmcnt(2)
	v_mul_f32_e32 v41, v43, v93
	v_mul_f32_e32 v43, v43, v92
	v_fmac_f32_e32 v41, v42, v92
	v_fma_f32 v42, v42, v93, -v43
	v_mul_f32_e32 v43, v33, v95
	v_mul_f32_e32 v33, v33, v94
	v_fmac_f32_e32 v43, v32, v94
	v_fma_f32 v32, v32, v95, -v33
	s_waitcnt lgkmcnt(1)
	v_mul_f32_e32 v33, v35, v97
	v_mul_f32_e32 v35, v35, v96
	v_fmac_f32_e32 v33, v34, v96
	v_fma_f32 v34, v34, v97, -v35
	;; [unrolled: 9-line block ×3, first 2 shown]
	v_sub_f32_e32 v18, v61, v18
	v_sub_f32_e32 v34, v30, v34
	;; [unrolled: 1-line block ×4, first 2 shown]
	v_mul_f32_e32 v27, v126, v136
	v_sub_f32_e32 v17, v60, v17
	v_fma_f32 v61, v61, 2.0, -v18
	v_sub_f32_e32 v33, v29, v33
	v_fma_f32 v30, v30, 2.0, -v34
	;; [unrolled: 2-line block ×4, first 2 shown]
	v_fmac_f32_e32 v27, v125, v135
	v_mul_f32_e32 v62, v126, v135
	v_fma_f32 v60, v60, 2.0, -v17
	v_fma_f32 v29, v29, 2.0, -v33
	;; [unrolled: 1-line block ×4, first 2 shown]
	v_sub_f32_e32 v30, v61, v30
	v_sub_f32_e32 v22, v38, v22
	v_fma_f32 v62, v125, v136, -v62
	v_sub_f32_e32 v19, v79, v19
	v_sub_f32_e32 v35, v31, v35
	;; [unrolled: 1-line block ×5, first 2 shown]
	v_fma_f32 v61, v61, 2.0, -v30
	v_sub_f32_e32 v33, v18, v33
	v_sub_f32_e32 v21, v37, v21
	v_fma_f32 v38, v38, 2.0, -v22
	v_sub_f32_e32 v40, v36, v40
	v_fma_f32 v63, v79, 2.0, -v19
	;; [unrolled: 2-line block ×5, first 2 shown]
	v_fma_f32 v60, v60, 2.0, -v29
	v_add_f32_e32 v34, v17, v34
	v_fma_f32 v18, v18, 2.0, -v33
	v_fma_f32 v37, v37, 2.0, -v21
	v_sub_f32_e32 v25, v42, v25
	v_sub_f32_e32 v68, v61, v38
	v_fma_f32 v36, v36, 2.0, -v40
	v_fma_f32 v20, v20, 2.0, -v24
	;; [unrolled: 1-line block ×5, first 2 shown]
	v_add_f32_e32 v26, v41, v26
	v_fma_f32 v42, v42, 2.0, -v25
	v_sub_f32_e32 v31, v63, v31
	v_sub_f32_e32 v23, v39, v23
	v_sub_f32_e32 v67, v60, v37
	v_fma_f32 v38, v61, 2.0, -v68
	v_mov_b32_e32 v61, v18
	v_fma_f32 v41, v41, 2.0, -v26
	v_sub_f32_e32 v20, v36, v20
	v_fma_f32 v63, v63, 2.0, -v31
	v_add_f32_e32 v24, v19, v24
	v_sub_f32_e32 v35, v40, v35
	v_sub_f32_e32 v16, v28, v16
	v_fma_f32 v39, v39, 2.0, -v23
	v_fma_f32 v37, v60, 2.0, -v67
	v_mov_b32_e32 v60, v17
	v_fmac_f32_e32 v61, 0xbf3504f3, v42
	v_fma_f32 v36, v36, 2.0, -v20
	v_fma_f32 v19, v19, 2.0, -v24
	;; [unrolled: 1-line block ×4, first 2 shown]
	v_add_f32_e32 v62, v43, v62
	v_sub_f32_e32 v27, v32, v27
	v_fmac_f32_e32 v60, 0xbf3504f3, v41
	v_fmac_f32_e32 v61, 0xbf3504f3, v41
	v_sub_f32_e32 v41, v63, v39
	v_fma_f32 v43, v43, 2.0, -v62
	v_fma_f32 v32, v32, 2.0, -v27
	v_fmac_f32_e32 v60, 0x3f3504f3, v42
	v_mov_b32_e32 v71, v34
	v_mov_b32_e32 v72, v33
	v_sub_f32_e32 v42, v36, v28
	v_fma_f32 v28, v63, 2.0, -v41
	v_mov_b32_e32 v63, v19
	v_mov_b32_e32 v73, v40
	v_fmac_f32_e32 v71, 0x3f3504f3, v26
	v_fmac_f32_e32 v72, 0x3f3504f3, v25
	;; [unrolled: 1-line block ×4, first 2 shown]
	v_fma_f32 v17, v17, 2.0, -v60
	v_fma_f32 v18, v18, 2.0, -v61
	v_fmac_f32_e32 v71, 0x3f3504f3, v25
	v_fmac_f32_e32 v72, 0xbf3504f3, v26
	;; [unrolled: 1-line block ×4, first 2 shown]
	v_fma_f32 v25, v34, 2.0, -v71
	v_fma_f32 v26, v33, 2.0, -v72
	;; [unrolled: 1-line block ×4, first 2 shown]
	v_mov_b32_e32 v76, v24
	v_mov_b32_e32 v77, v35
	;; [unrolled: 1-line block ×4, first 2 shown]
	v_sub_f32_e32 v70, v30, v21
	v_fmac_f32_e32 v76, 0x3f3504f3, v62
	v_fmac_f32_e32 v77, 0x3f3504f3, v27
	v_fmac_f32_e32 v32, 0xbf6c835e, v19
	v_fmac_f32_e32 v33, 0xbf6c835e, v34
	v_add_f32_e32 v69, v29, v22
	v_fma_f32 v22, v30, 2.0, -v70
	v_sub_f32_e32 v75, v20, v23
	v_fmac_f32_e32 v76, 0x3f3504f3, v27
	v_fmac_f32_e32 v77, 0xbf3504f3, v62
	;; [unrolled: 1-line block ×4, first 2 shown]
	v_add_f32_e32 v74, v31, v16
	v_fma_f32 v20, v20, 2.0, -v75
	v_fma_f32 v24, v24, 2.0, -v76
	v_fma_f32 v27, v35, 2.0, -v77
	v_fma_f32 v34, v17, 2.0, -v32
	v_fma_f32 v35, v18, 2.0, -v33
	v_mov_b32_e32 v17, v22
	v_mov_b32_e32 v18, v25
	v_mov_b32_e32 v19, v26
	v_fma_f32 v21, v29, 2.0, -v69
	v_fma_f32 v29, v36, 2.0, -v42
	;; [unrolled: 1-line block ×3, first 2 shown]
	v_fmac_f32_e32 v17, 0xbf3504f3, v20
	v_fmac_f32_e32 v18, 0xbec3ef15, v24
	;; [unrolled: 1-line block ×3, first 2 shown]
	v_sub_f32_e32 v28, v37, v28
	v_sub_f32_e32 v29, v38, v29
	v_mov_b32_e32 v16, v21
	v_fmac_f32_e32 v17, 0xbf3504f3, v23
	v_fmac_f32_e32 v18, 0x3f6c835e, v27
	v_fmac_f32_e32 v19, 0xbf6c835e, v24
	v_fma_f32 v30, v37, 2.0, -v28
	v_fma_f32 v31, v38, 2.0, -v29
	v_fmac_f32_e32 v16, 0xbf3504f3, v23
	v_fma_f32 v37, v22, 2.0, -v17
	v_fma_f32 v38, v25, 2.0, -v18
	v_fma_f32 v39, v26, 2.0, -v19
	v_mov_b32_e32 v22, v60
	v_mov_b32_e32 v23, v61
	;; [unrolled: 1-line block ×6, first 2 shown]
	v_fmac_f32_e32 v16, 0x3f3504f3, v20
	v_fmac_f32_e32 v22, 0x3ec3ef15, v63
	;; [unrolled: 1-line block ×7, first 2 shown]
	v_fma_f32 v36, v21, 2.0, -v16
	v_add_f32_e32 v20, v67, v42
	v_sub_f32_e32 v21, v68, v41
	v_fmac_f32_e32 v22, 0x3f6c835e, v73
	v_fmac_f32_e32 v23, 0xbf6c835e, v63
	;; [unrolled: 1-line block ×6, first 2 shown]
	v_fma_f32 v40, v67, 2.0, -v20
	v_fma_f32 v41, v68, 2.0, -v21
	;; [unrolled: 1-line block ×8, first 2 shown]
	v_add_u32_e32 v67, 0x1400, v129
	s_barrier
	ds_write2_b64 v138, v[30:31], v[34:35] offset1:10
	ds_write2_b64 v138, v[36:37], v[38:39] offset0:20 offset1:30
	ds_write2_b64 v138, v[40:41], v[42:43] offset0:40 offset1:50
	;; [unrolled: 1-line block ×7, first 2 shown]
	s_waitcnt lgkmcnt(0)
	s_barrier
	ds_read2_b64 v[28:31], v129 offset1:160
	ds_read2_b64 v[60:63], v64 offset0:64 offset1:224
	ds_read2_b64 v[40:43], v67 offset1:160
	ds_read2_b64 v[36:39], v65 offset0:64 offset1:224
	ds_read2_b64 v[32:35], v66 offset1:160
	s_and_saveexec_b64 s[2:3], s[0:1]
	s_cbranch_execz .LBB0_19
; %bb.18:
	v_add_u32_e32 v68, 0x2000, v129
	v_add_u32_e32 v16, 0x200, v129
	;; [unrolled: 1-line block ×4, first 2 shown]
	ds_read2_b64 v[80:83], v68 offset0:36 offset1:196
	v_add_u32_e32 v68, 0x2a00, v129
	ds_read2_b64 v[16:19], v16 offset0:36 offset1:196
	ds_read2_b64 v[20:23], v20 offset0:36 offset1:196
	;; [unrolled: 1-line block ×4, first 2 shown]
.LBB0_19:
	s_or_b64 exec, exec, s[2:3]
	s_waitcnt lgkmcnt(4)
	v_mul_f32_e32 v68, v57, v31
	v_fmac_f32_e32 v68, v56, v30
	v_mul_f32_e32 v30, v57, v30
	s_waitcnt lgkmcnt(3)
	v_mul_f32_e32 v57, v53, v63
	v_mul_f32_e32 v53, v53, v62
	v_fmac_f32_e32 v57, v52, v62
	v_fma_f32 v52, v52, v63, -v53
	s_waitcnt lgkmcnt(2)
	v_mul_f32_e32 v53, v55, v41
	v_fmac_f32_e32 v53, v54, v40
	v_mul_f32_e32 v40, v55, v40
	v_fma_f32 v40, v54, v41, -v40
	v_mul_f32_e32 v41, v49, v43
	v_fmac_f32_e32 v41, v48, v42
	v_mul_f32_e32 v42, v49, v42
	v_fma_f32 v42, v48, v43, -v42
	s_waitcnt lgkmcnt(1)
	v_mul_f32_e32 v43, v51, v37
	v_fmac_f32_e32 v43, v50, v36
	v_mul_f32_e32 v36, v51, v36
	v_fma_f32 v36, v50, v37, -v36
	v_mul_f32_e32 v37, v45, v39
	v_fmac_f32_e32 v37, v44, v38
	v_mul_f32_e32 v38, v45, v38
	v_fma_f32 v38, v44, v39, -v38
	s_waitcnt lgkmcnt(0)
	v_mul_f32_e32 v39, v47, v33
	v_fmac_f32_e32 v39, v46, v32
	v_mul_f32_e32 v32, v47, v32
	v_fma_f32 v56, v56, v31, -v30
	v_mul_f32_e32 v30, v59, v61
	v_fma_f32 v32, v46, v33, -v32
	v_mul_f32_e32 v33, v128, v35
	v_fmac_f32_e32 v30, v58, v60
	v_fmac_f32_e32 v33, v127, v34
	v_mul_f32_e32 v34, v128, v34
	v_fma_f32 v34, v127, v35, -v34
	v_add_f32_e32 v35, v28, v30
	v_add_f32_e32 v35, v35, v53
	v_add_f32_e32 v35, v35, v43
	v_mul_f32_e32 v31, v59, v60
	v_add_f32_e32 v44, v35, v39
	v_add_f32_e32 v35, v53, v43
	v_fma_f32 v31, v58, v61, -v31
	v_fma_f32 v45, -0.5, v35, v28
	v_sub_f32_e32 v35, v31, v32
	v_mov_b32_e32 v46, v45
	v_fmac_f32_e32 v46, 0xbf737871, v35
	v_sub_f32_e32 v47, v40, v36
	v_sub_f32_e32 v48, v30, v53
	;; [unrolled: 1-line block ×3, first 2 shown]
	v_fmac_f32_e32 v45, 0x3f737871, v35
	v_fmac_f32_e32 v46, 0xbf167918, v47
	v_add_f32_e32 v48, v48, v49
	v_fmac_f32_e32 v45, 0x3f167918, v47
	v_fmac_f32_e32 v46, 0x3e9e377a, v48
	;; [unrolled: 1-line block ×3, first 2 shown]
	v_add_f32_e32 v48, v30, v39
	v_fma_f32 v48, -0.5, v48, v28
	v_mov_b32_e32 v49, v48
	v_fmac_f32_e32 v49, 0x3f737871, v47
	v_sub_f32_e32 v28, v53, v30
	v_sub_f32_e32 v50, v43, v39
	v_fmac_f32_e32 v48, 0xbf737871, v47
	v_fmac_f32_e32 v49, 0xbf167918, v35
	v_add_f32_e32 v28, v28, v50
	v_fmac_f32_e32 v48, 0x3f167918, v35
	v_fmac_f32_e32 v49, 0x3e9e377a, v28
	;; [unrolled: 1-line block ×3, first 2 shown]
	v_add_f32_e32 v28, v29, v31
	v_add_f32_e32 v28, v28, v40
	;; [unrolled: 1-line block ×5, first 2 shown]
	v_fma_f32 v50, -0.5, v28, v29
	v_sub_f32_e32 v28, v30, v39
	v_mov_b32_e32 v51, v50
	v_fmac_f32_e32 v51, 0x3f737871, v28
	v_sub_f32_e32 v30, v53, v43
	v_sub_f32_e32 v35, v31, v40
	;; [unrolled: 1-line block ×3, first 2 shown]
	v_fmac_f32_e32 v50, 0xbf737871, v28
	v_fmac_f32_e32 v51, 0x3f167918, v30
	v_add_f32_e32 v35, v35, v39
	v_fmac_f32_e32 v50, 0xbf167918, v30
	v_fmac_f32_e32 v51, 0x3e9e377a, v35
	v_fmac_f32_e32 v50, 0x3e9e377a, v35
	v_add_f32_e32 v35, v31, v32
	v_fma_f32 v53, -0.5, v35, v29
	v_mov_b32_e32 v43, v53
	v_fmac_f32_e32 v43, 0xbf737871, v30
	v_fmac_f32_e32 v53, 0x3f737871, v30
	;; [unrolled: 1-line block ×4, first 2 shown]
	v_add_f32_e32 v28, v68, v57
	v_add_f32_e32 v28, v28, v41
	v_add_f32_e32 v28, v28, v37
	v_add_f32_e32 v39, v28, v33
	v_add_f32_e32 v28, v41, v37
	v_sub_f32_e32 v29, v40, v31
	v_sub_f32_e32 v31, v36, v32
	v_fma_f32 v40, -0.5, v28, v68
	v_add_f32_e32 v29, v29, v31
	v_sub_f32_e32 v28, v52, v34
	v_mov_b32_e32 v31, v40
	v_fmac_f32_e32 v43, 0x3e9e377a, v29
	v_fmac_f32_e32 v53, 0x3e9e377a, v29
	;; [unrolled: 1-line block ×3, first 2 shown]
	v_sub_f32_e32 v29, v42, v38
	v_sub_f32_e32 v30, v57, v41
	;; [unrolled: 1-line block ×3, first 2 shown]
	v_fmac_f32_e32 v40, 0x3f737871, v28
	v_fmac_f32_e32 v31, 0xbf167918, v29
	v_add_f32_e32 v30, v30, v32
	v_fmac_f32_e32 v40, 0x3f167918, v29
	v_fmac_f32_e32 v31, 0x3e9e377a, v30
	;; [unrolled: 1-line block ×3, first 2 shown]
	v_add_f32_e32 v30, v57, v33
	v_fmac_f32_e32 v68, -0.5, v30
	v_mov_b32_e32 v35, v68
	v_fmac_f32_e32 v35, 0x3f737871, v29
	v_fmac_f32_e32 v68, 0xbf737871, v29
	;; [unrolled: 1-line block ×4, first 2 shown]
	v_add_f32_e32 v28, v56, v52
	v_add_f32_e32 v28, v28, v42
	;; [unrolled: 1-line block ×5, first 2 shown]
	v_sub_f32_e32 v30, v41, v57
	v_sub_f32_e32 v32, v37, v33
	v_fma_f32 v55, -0.5, v28, v56
	v_add_f32_e32 v30, v30, v32
	v_sub_f32_e32 v28, v57, v33
	v_mov_b32_e32 v33, v55
	v_fmac_f32_e32 v35, 0x3e9e377a, v30
	v_fmac_f32_e32 v68, 0x3e9e377a, v30
	;; [unrolled: 1-line block ×3, first 2 shown]
	v_sub_f32_e32 v29, v41, v37
	v_sub_f32_e32 v30, v52, v42
	;; [unrolled: 1-line block ×3, first 2 shown]
	v_fmac_f32_e32 v55, 0xbf737871, v28
	v_fmac_f32_e32 v33, 0x3f167918, v29
	v_add_f32_e32 v30, v30, v32
	v_fmac_f32_e32 v55, 0xbf167918, v29
	v_fmac_f32_e32 v33, 0x3e9e377a, v30
	v_fmac_f32_e32 v55, 0x3e9e377a, v30
	v_add_f32_e32 v30, v52, v34
	v_fmac_f32_e32 v56, -0.5, v30
	v_mov_b32_e32 v37, v56
	v_fmac_f32_e32 v37, 0xbf737871, v29
	v_sub_f32_e32 v30, v42, v52
	v_sub_f32_e32 v32, v38, v34
	v_fmac_f32_e32 v56, 0x3f737871, v29
	v_fmac_f32_e32 v37, 0x3f167918, v28
	v_add_f32_e32 v30, v30, v32
	v_fmac_f32_e32 v56, 0xbf167918, v28
	v_fmac_f32_e32 v37, 0x3e9e377a, v30
	;; [unrolled: 1-line block ×3, first 2 shown]
	v_mul_f32_e32 v41, 0xbf167918, v33
	v_mul_f32_e32 v58, 0x3f4f1bbd, v33
	v_fmac_f32_e32 v41, 0x3f4f1bbd, v31
	v_mul_f32_e32 v42, 0xbf737871, v37
	v_mul_f32_e32 v52, 0xbf737871, v56
	v_mul_f32_e32 v57, 0xbf167918, v55
	v_fmac_f32_e32 v58, 0x3f167918, v31
	v_mul_f32_e32 v59, 0x3e9e377a, v37
	v_mul_f32_e32 v56, 0xbe9e377a, v56
	;; [unrolled: 1-line block ×3, first 2 shown]
	v_add_f32_e32 v28, v44, v39
	v_add_f32_e32 v30, v46, v41
	v_fmac_f32_e32 v42, 0x3e9e377a, v35
	v_fmac_f32_e32 v52, 0xbe9e377a, v68
	;; [unrolled: 1-line block ×3, first 2 shown]
	v_add_f32_e32 v29, v47, v54
	v_add_f32_e32 v31, v51, v58
	v_fmac_f32_e32 v59, 0x3f737871, v35
	v_fmac_f32_e32 v56, 0x3f737871, v68
	;; [unrolled: 1-line block ×3, first 2 shown]
	v_add_f32_e32 v32, v49, v42
	v_add_f32_e32 v34, v48, v52
	;; [unrolled: 1-line block ×6, first 2 shown]
	v_sub_f32_e32 v38, v44, v39
	v_sub_f32_e32 v40, v46, v41
	;; [unrolled: 1-line block ×10, first 2 shown]
	ds_write2_b64 v129, v[28:29], v[30:31] offset1:160
	ds_write2_b64 v64, v[32:33], v[34:35] offset0:64 offset1:224
	ds_write2_b64 v67, v[36:37], v[38:39] offset1:160
	ds_write2_b64 v65, v[40:41], v[42:43] offset0:64 offset1:224
	ds_write2_b64 v66, v[44:45], v[46:47] offset1:160
	s_and_saveexec_b64 s[2:3], s[0:1]
	s_cbranch_execz .LBB0_21
; %bb.20:
	v_mul_f32_e32 v28, v3, v20
	v_fma_f32 v28, v2, v21, -v28
	v_mul_f32_e32 v29, v15, v24
	v_mul_f32_e32 v21, v3, v21
	;; [unrolled: 1-line block ×3, first 2 shown]
	v_fma_f32 v29, v14, v25, -v29
	v_fmac_f32_e32 v21, v2, v20
	v_fmac_f32_e32 v15, v14, v24
	v_mul_f32_e32 v20, v13, v23
	v_mul_f32_e32 v24, v5, v27
	;; [unrolled: 1-line block ×4, first 2 shown]
	v_fmac_f32_e32 v20, v12, v22
	v_fmac_f32_e32 v24, v4, v26
	v_fmac_f32_e32 v25, v123, v86
	v_fmac_f32_e32 v34, v8, v82
	v_mul_f32_e32 v32, v7, v80
	v_mul_f32_e32 v14, v7, v81
	v_sub_f32_e32 v3, v20, v24
	v_sub_f32_e32 v7, v25, v34
	v_mul_f32_e32 v35, v1, v19
	v_add_f32_e32 v7, v7, v3
	v_fmac_f32_e32 v35, v0, v18
	v_add_f32_e32 v3, v24, v34
	v_fma_f32 v36, -0.5, v3, v35
	v_mul_f32_e32 v3, v13, v22
	v_fma_f32 v12, v12, v23, -v3
	v_mul_f32_e32 v3, v124, v86
	v_fma_f32 v13, v123, v87, -v3
	v_mul_f32_e32 v3, v5, v26
	v_fma_f32 v4, v4, v27, -v3
	v_mul_f32_e32 v3, v9, v82
	v_mul_f32_e32 v31, v11, v84
	v_fma_f32 v8, v8, v83, -v3
	v_fma_f32 v31, v10, v85, -v31
	;; [unrolled: 1-line block ×3, first 2 shown]
	v_sub_f32_e32 v3, v12, v4
	v_sub_f32_e32 v5, v13, v8
	v_add_f32_e32 v26, v5, v3
	v_sub_f32_e32 v3, v29, v28
	v_sub_f32_e32 v5, v32, v31
	v_add_f32_e32 v5, v5, v3
	v_add_f32_e32 v3, v31, v28
	v_sub_f32_e32 v30, v28, v29
	v_sub_f32_e32 v33, v31, v32
	v_fma_f32 v39, -0.5, v3, v17
	v_sub_f32_e32 v3, v24, v20
	v_sub_f32_e32 v41, v34, v25
	v_add_f32_e32 v30, v33, v30
	v_add_f32_e32 v33, v32, v29
	v_mul_f32_e32 v11, v11, v85
	v_fmac_f32_e32 v14, v6, v80
	v_add_f32_e32 v41, v41, v3
	v_add_f32_e32 v3, v25, v20
	v_fma_f32 v33, -0.5, v33, v17
	v_fmac_f32_e32 v11, v10, v84
	v_sub_f32_e32 v6, v15, v14
	v_mul_f32_e32 v1, v1, v18
	v_mov_b32_e32 v40, v39
	v_fma_f32 v42, -0.5, v3, v35
	v_sub_f32_e32 v3, v4, v12
	v_sub_f32_e32 v44, v8, v13
	;; [unrolled: 1-line block ×3, first 2 shown]
	v_mov_b32_e32 v10, v33
	v_fma_f32 v0, v0, v19, -v1
	v_add_f32_e32 v1, v4, v8
	v_fmac_f32_e32 v40, 0x3f737871, v6
	v_add_f32_e32 v44, v44, v3
	v_add_f32_e32 v3, v13, v12
	v_fmac_f32_e32 v39, 0xbf737871, v6
	v_fmac_f32_e32 v10, 0xbf737871, v2
	v_fma_f32 v18, -0.5, v1, v0
	v_fmac_f32_e32 v40, 0xbf167918, v2
	v_fma_f32 v45, -0.5, v3, v0
	v_fmac_f32_e32 v39, 0x3f167918, v2
	v_fmac_f32_e32 v33, 0x3f737871, v2
	v_add_f32_e32 v2, v28, v17
	v_add_f32_e32 v0, v12, v0
	v_sub_f32_e32 v9, v4, v8
	v_sub_f32_e32 v19, v20, v25
	v_mov_b32_e32 v27, v18
	v_mov_b32_e32 v43, v42
	v_add_f32_e32 v2, v29, v2
	v_add_f32_e32 v0, v4, v0
	v_sub_f32_e32 v22, v12, v13
	v_mov_b32_e32 v23, v36
	v_fmac_f32_e32 v27, 0xbf737871, v19
	v_sub_f32_e32 v37, v24, v34
	v_fmac_f32_e32 v43, 0xbf737871, v9
	v_fmac_f32_e32 v42, 0x3f737871, v9
	v_add_f32_e32 v2, v32, v2
	v_add_f32_e32 v0, v8, v0
	v_fmac_f32_e32 v23, 0x3f737871, v22
	v_fmac_f32_e32 v27, 0xbf167918, v37
	;; [unrolled: 1-line block ×5, first 2 shown]
	v_add_f32_e32 v22, v31, v2
	v_add_f32_e32 v12, v13, v0
	v_sub_f32_e32 v0, v21, v15
	v_sub_f32_e32 v2, v11, v14
	v_fmac_f32_e32 v10, 0xbf167918, v6
	v_fmac_f32_e32 v23, 0x3f167918, v9
	v_fmac_f32_e32 v27, 0x3e9e377a, v26
	v_fmac_f32_e32 v33, 0x3f167918, v6
	v_add_f32_e32 v6, v2, v0
	v_sub_f32_e32 v2, v15, v21
	v_sub_f32_e32 v4, v14, v11
	v_fmac_f32_e32 v23, 0x3e9e377a, v7
	v_mul_f32_e32 v38, 0xbf4f1bbd, v27
	v_fmac_f32_e32 v18, 0x3f737871, v19
	v_mul_f32_e32 v27, 0xbf167918, v27
	v_add_f32_e32 v4, v4, v2
	v_add_f32_e32 v2, v11, v21
	v_fmac_f32_e32 v38, 0x3f167918, v23
	v_fmac_f32_e32 v18, 0x3f167918, v37
	v_add_f32_e32 v0, v14, v15
	v_fmac_f32_e32 v27, 0xbf4f1bbd, v23
	v_fma_f32 v23, -0.5, v2, v16
	v_fmac_f32_e32 v18, 0x3e9e377a, v26
	v_fma_f32 v26, -0.5, v0, v16
	v_sub_f32_e32 v13, v29, v32
	v_mov_b32_e32 v29, v23
	v_sub_f32_e32 v8, v28, v31
	v_mov_b32_e32 v28, v26
	v_fmac_f32_e32 v29, 0xbf737871, v13
	v_fmac_f32_e32 v23, 0x3f737871, v13
	;; [unrolled: 1-line block ×6, first 2 shown]
	v_add_f32_e32 v8, v21, v16
	v_add_f32_e32 v8, v15, v8
	v_mov_b32_e32 v46, v45
	v_add_f32_e32 v8, v14, v8
	v_fmac_f32_e32 v46, 0x3f737871, v37
	v_fmac_f32_e32 v45, 0xbf737871, v37
	v_add_f32_e32 v21, v11, v8
	v_add_f32_e32 v8, v20, v35
	v_fmac_f32_e32 v46, 0xbf167918, v19
	v_fmac_f32_e32 v45, 0x3f167918, v19
	;; [unrolled: 1-line block ×3, first 2 shown]
	v_add_f32_e32 v8, v24, v8
	v_fmac_f32_e32 v46, 0x3e9e377a, v44
	v_fmac_f32_e32 v45, 0x3e9e377a, v44
	;; [unrolled: 1-line block ×3, first 2 shown]
	v_mul_f32_e32 v19, 0x3f4f1bbd, v18
	v_fmac_f32_e32 v26, 0xbf167918, v13
	v_mul_f32_e32 v18, 0xbf167918, v18
	v_add_f32_e32 v8, v34, v8
	v_fmac_f32_e32 v10, 0x3e9e377a, v30
	v_fmac_f32_e32 v43, 0x3e9e377a, v41
	v_mul_f32_e32 v47, 0xbe9e377a, v46
	v_fmac_f32_e32 v42, 0x3e9e377a, v41
	v_mul_f32_e32 v41, 0x3e9e377a, v45
	v_fmac_f32_e32 v33, 0x3e9e377a, v30
	v_fmac_f32_e32 v19, 0x3f167918, v36
	;; [unrolled: 1-line block ×3, first 2 shown]
	v_mul_f32_e32 v30, 0xbf737871, v46
	v_mul_f32_e32 v31, 0xbf737871, v45
	v_fmac_f32_e32 v26, 0x3e9e377a, v6
	v_fmac_f32_e32 v18, 0x3f4f1bbd, v36
	v_add_f32_e32 v20, v25, v8
	v_fmac_f32_e32 v40, 0x3e9e377a, v5
	v_fmac_f32_e32 v47, 0x3f737871, v43
	;; [unrolled: 1-line block ×4, first 2 shown]
	v_sub_f32_e32 v7, v33, v19
	v_fmac_f32_e32 v28, 0x3e9e377a, v6
	v_fmac_f32_e32 v29, 0x3e9e377a, v4
	v_fmac_f32_e32 v30, 0xbe9e377a, v43
	v_fmac_f32_e32 v23, 0x3e9e377a, v4
	v_fmac_f32_e32 v31, 0x3e9e377a, v42
	v_sub_f32_e32 v6, v26, v18
	v_sub_f32_e32 v8, v21, v20
	v_add_f32_e32 v17, v33, v19
	v_add_f32_e32 v19, v22, v12
	;; [unrolled: 1-line block ×4, first 2 shown]
	v_add_u32_e32 v20, 0x200, v129
	v_sub_f32_e32 v9, v22, v12
	v_add_f32_e32 v13, v40, v47
	v_add_f32_e32 v15, v39, v41
	;; [unrolled: 1-line block ×4, first 2 shown]
	ds_write2_b64 v20, v[18:19], v[16:17] offset0:36 offset1:196
	v_add_u32_e32 v16, 0xc00, v129
	v_sub_f32_e32 v1, v10, v38
	v_add_f32_e32 v11, v10, v38
	v_add_f32_e32 v10, v28, v27
	ds_write2_b64 v16, v[14:15], v[12:13] offset0:36 offset1:196
	v_add_u32_e32 v12, 0x1600, v129
	v_sub_f32_e32 v5, v39, v41
	v_sub_f32_e32 v4, v23, v31
	ds_write2_b64 v12, v[10:11], v[8:9] offset0:36 offset1:196
	v_add_u32_e32 v8, 0x2000, v129
	v_sub_f32_e32 v3, v40, v47
	v_sub_f32_e32 v0, v28, v27
	;; [unrolled: 1-line block ×3, first 2 shown]
	ds_write2_b64 v8, v[6:7], v[4:5] offset0:36 offset1:196
	v_add_u32_e32 v4, 0x2a00, v129
	ds_write2_b64 v4, v[2:3], v[0:1] offset0:36 offset1:196
.LBB0_21:
	s_or_b64 exec, exec, s[2:3]
	s_waitcnt lgkmcnt(0)
	s_barrier
	ds_read2_b64 v[0:3], v129 offset1:160
	v_mad_u64_u32 v[4:5], s[2:3], s10, v104, 0
	s_mov_b32 s2, 0x47ae147b
	s_mov_b32 s3, 0x3f447ae1
	s_waitcnt lgkmcnt(0)
	v_mul_f32_e32 v6, v122, v1
	v_fmac_f32_e32 v6, v121, v0
	v_cvt_f64_f32_e32 v[6:7], v6
	v_mul_f32_e32 v0, v122, v0
	v_fma_f32 v0, v121, v1, -v0
	v_cvt_f64_f32_e32 v[0:1], v0
	v_mul_f64 v[6:7], v[6:7], s[2:3]
	v_mad_u64_u32 v[8:9], s[4:5], s8, v132, 0
	v_mul_f64 v[0:1], v[0:1], s[2:3]
	v_mov_b32_e32 v18, 0xa00
	s_mul_i32 s10, s9, 0xa00
	v_mad_u64_u32 v[10:11], s[4:5], s11, v104, v[5:6]
	v_mov_b32_e32 v5, v9
	v_mad_u64_u32 v[11:12], s[4:5], s9, v132, v[5:6]
	v_mov_b32_e32 v5, v10
	v_cvt_f32_f64_e32 v6, v[6:7]
	v_cvt_f32_f64_e32 v7, v[0:1]
	v_lshlrev_b64 v[0:1], 3, v[4:5]
	v_mul_f32_e32 v4, v120, v3
	v_fmac_f32_e32 v4, v119, v2
	v_mul_f32_e32 v2, v120, v2
	v_cvt_f64_f32_e32 v[4:5], v4
	v_fma_f32 v2, v119, v3, -v2
	v_cvt_f64_f32_e32 v[2:3], v2
	v_mov_b32_e32 v10, s7
	v_add_co_u32_e32 v16, vcc, s6, v0
	v_addc_co_u32_e32 v17, vcc, v10, v1, vcc
	v_mul_f64 v[0:1], v[4:5], s[2:3]
	v_mul_f64 v[2:3], v[2:3], s[2:3]
	v_mov_b32_e32 v9, v11
	v_lshlrev_b64 v[4:5], 3, v[8:9]
	s_mul_i32 s4, s9, 0xa0
	v_add_co_u32_e32 v4, vcc, v16, v4
	v_addc_co_u32_e32 v5, vcc, v17, v5, vcc
	global_store_dwordx2 v[4:5], v[6:7], off
	v_cvt_f32_f64_e32 v6, v[0:1]
	v_add_u32_e32 v0, 0x800, v129
	v_cvt_f32_f64_e32 v7, v[2:3]
	ds_read2_b64 v[0:3], v0 offset0:64 offset1:224
	s_mul_hi_u32 s5, s8, 0xa0
	s_add_i32 s5, s5, s4
	s_mul_i32 s4, s8, 0xa0
	s_lshl_b64 s[4:5], s[4:5], 3
	s_waitcnt lgkmcnt(0)
	v_mul_f32_e32 v8, v116, v1
	v_fmac_f32_e32 v8, v115, v0
	v_mul_f32_e32 v0, v116, v0
	v_fma_f32 v0, v115, v1, -v0
	v_cvt_f64_f32_e32 v[8:9], v8
	v_cvt_f64_f32_e32 v[0:1], v0
	v_mov_b32_e32 v14, s5
	v_add_co_u32_e32 v4, vcc, s4, v4
	v_addc_co_u32_e32 v5, vcc, v5, v14, vcc
	global_store_dwordx2 v[4:5], v[6:7], off
	v_mul_f64 v[6:7], v[8:9], s[2:3]
	v_mul_f64 v[0:1], v[0:1], s[2:3]
	v_mul_f32_e32 v8, v114, v3
	v_fmac_f32_e32 v8, v113, v2
	v_mul_f32_e32 v2, v114, v2
	v_fma_f32 v2, v113, v3, -v2
	v_cvt_f64_f32_e32 v[2:3], v2
	v_cvt_f64_f32_e32 v[8:9], v8
	v_cvt_f32_f64_e32 v6, v[6:7]
	v_cvt_f32_f64_e32 v7, v[0:1]
	v_add_u32_e32 v0, 0x1400, v129
	v_mul_f64 v[10:11], v[2:3], s[2:3]
	ds_read2_b64 v[0:3], v0 offset1:160
	v_mul_f64 v[8:9], v[8:9], s[2:3]
	v_add_co_u32_e32 v4, vcc, s4, v4
	v_addc_co_u32_e32 v5, vcc, v5, v14, vcc
	s_waitcnt lgkmcnt(0)
	v_mul_f32_e32 v12, v118, v1
	v_fmac_f32_e32 v12, v117, v0
	v_cvt_f64_f32_e32 v[12:13], v12
	global_store_dwordx2 v[4:5], v[6:7], off
	v_cvt_f32_f64_e32 v6, v[8:9]
	v_mul_f32_e32 v0, v118, v0
	v_mul_f64 v[8:9], v[12:13], s[2:3]
	v_fma_f32 v0, v117, v1, -v0
	v_cvt_f64_f32_e32 v[0:1], v0
	v_cvt_f32_f64_e32 v7, v[10:11]
	v_mad_u64_u32 v[10:11], s[6:7], s8, v131, 0
	v_add_co_u32_e32 v4, vcc, s4, v4
	v_addc_co_u32_e32 v5, vcc, v5, v14, vcc
	v_mul_f64 v[0:1], v[0:1], s[2:3]
	global_store_dwordx2 v[4:5], v[6:7], off
	v_mov_b32_e32 v7, v11
	v_cvt_f32_f64_e32 v6, v[8:9]
	v_mad_u64_u32 v[8:9], s[6:7], s9, v131, v[7:8]
	v_mul_f32_e32 v7, v112, v3
	v_fmac_f32_e32 v7, v111, v2
	v_mul_f32_e32 v2, v112, v2
	v_cvt_f64_f32_e32 v[12:13], v7
	v_fma_f32 v2, v111, v3, -v2
	v_cvt_f64_f32_e32 v[2:3], v2
	v_cvt_f32_f64_e32 v7, v[0:1]
	v_mul_f64 v[0:1], v[12:13], s[2:3]
	v_mov_b32_e32 v11, v8
	v_mul_f64 v[2:3], v[2:3], s[2:3]
	v_lshlrev_b64 v[8:9], 3, v[10:11]
	v_mad_u64_u32 v[4:5], s[6:7], s8, v18, v[4:5]
	v_add_co_u32_e32 v8, vcc, v16, v8
	v_addc_co_u32_e32 v9, vcc, v17, v9, vcc
	global_store_dwordx2 v[8:9], v[6:7], off
	v_cvt_f32_f64_e32 v6, v[0:1]
	v_add_u32_e32 v0, 0x1c00, v129
	v_cvt_f32_f64_e32 v7, v[2:3]
	ds_read2_b64 v[0:3], v0 offset0:64 offset1:224
	v_add_u32_e32 v5, s10, v5
	global_store_dwordx2 v[4:5], v[6:7], off
	v_add_co_u32_e32 v4, vcc, s4, v4
	s_waitcnt lgkmcnt(0)
	v_mul_f32_e32 v8, v106, v1
	v_fmac_f32_e32 v8, v105, v0
	v_mul_f32_e32 v0, v106, v0
	v_fma_f32 v0, v105, v1, -v0
	v_cvt_f64_f32_e32 v[8:9], v8
	v_cvt_f64_f32_e32 v[0:1], v0
	v_addc_co_u32_e32 v5, vcc, v5, v14, vcc
	v_mul_f64 v[6:7], v[8:9], s[2:3]
	v_mul_f64 v[0:1], v[0:1], s[2:3]
	v_mul_f32_e32 v8, v110, v3
	v_fmac_f32_e32 v8, v109, v2
	v_mul_f32_e32 v2, v110, v2
	v_fma_f32 v2, v109, v3, -v2
	v_cvt_f64_f32_e32 v[8:9], v8
	v_cvt_f64_f32_e32 v[2:3], v2
	v_cvt_f32_f64_e32 v6, v[6:7]
	v_cvt_f32_f64_e32 v7, v[0:1]
	v_add_u32_e32 v0, 0x2800, v129
	v_mul_f64 v[8:9], v[8:9], s[2:3]
	v_mul_f64 v[10:11], v[2:3], s[2:3]
	ds_read2_b64 v[0:3], v0 offset1:160
	global_store_dwordx2 v[4:5], v[6:7], off
	v_add_co_u32_e32 v4, vcc, s4, v4
	v_addc_co_u32_e32 v5, vcc, v5, v14, vcc
	s_waitcnt lgkmcnt(0)
	v_mul_f32_e32 v12, v103, v3
	v_fmac_f32_e32 v12, v102, v2
	v_cvt_f64_f32_e32 v[12:13], v12
	v_cvt_f32_f64_e32 v6, v[8:9]
	v_mul_f32_e32 v8, v108, v1
	v_fmac_f32_e32 v8, v107, v0
	v_mul_f32_e32 v0, v108, v0
	v_fma_f32 v0, v107, v1, -v0
	v_mul_f32_e32 v2, v103, v2
	v_cvt_f64_f32_e32 v[0:1], v0
	v_fma_f32 v2, v102, v3, -v2
	v_mul_f64 v[12:13], v[12:13], s[2:3]
	v_cvt_f64_f32_e32 v[8:9], v8
	v_cvt_f64_f32_e32 v[2:3], v2
	v_cvt_f32_f64_e32 v7, v[10:11]
	v_mad_u64_u32 v[10:11], s[6:7], s8, v130, 0
	v_mul_f64 v[0:1], v[0:1], s[2:3]
	v_mul_f64 v[8:9], v[8:9], s[2:3]
	;; [unrolled: 1-line block ×3, first 2 shown]
	v_mad_u64_u32 v[14:15], s[6:7], s9, v130, v[11:12]
	global_store_dwordx2 v[4:5], v[6:7], off
	v_mov_b32_e32 v11, v14
	v_cvt_f32_f64_e32 v7, v[0:1]
	v_mad_u64_u32 v[0:1], s[6:7], s8, v18, v[4:5]
	v_cvt_f32_f64_e32 v6, v[8:9]
	v_lshlrev_b64 v[8:9], 3, v[10:11]
	v_cvt_f32_f64_e32 v10, v[12:13]
	v_cvt_f32_f64_e32 v11, v[2:3]
	v_add_co_u32_e32 v2, vcc, v16, v8
	v_addc_co_u32_e32 v3, vcc, v17, v9, vcc
	v_add_u32_e32 v1, s10, v1
	global_store_dwordx2 v[2:3], v[6:7], off
	global_store_dwordx2 v[0:1], v[10:11], off
	s_and_b64 exec, exec, s[0:1]
	s_cbranch_execz .LBB0_23
; %bb.22:
	global_load_dwordx2 v[6:7], v[100:101], off offset:800
	v_add_u32_e32 v2, 0x200, v129
	ds_read2_b64 v[2:5], v2 offset0:36 offset1:196
	v_mov_b32_e32 v10, s5
	s_waitcnt vmcnt(0) lgkmcnt(0)
	v_mul_f32_e32 v8, v3, v7
	v_mul_f32_e32 v7, v2, v7
	v_fmac_f32_e32 v8, v2, v6
	v_fma_f32 v6, v6, v3, -v7
	v_cvt_f64_f32_e32 v[2:3], v8
	v_cvt_f64_f32_e32 v[6:7], v6
	v_mov_b32_e32 v8, 0xffffd620
	v_mad_u64_u32 v[0:1], s[0:1], s8, v8, v[0:1]
	v_mul_f64 v[2:3], v[2:3], s[2:3]
	v_mul_f64 v[6:7], v[6:7], s[2:3]
	s_mul_i32 s0, s9, 0xffffd620
	s_sub_i32 s0, s0, s8
	v_add_u32_e32 v1, s0, v1
	s_movk_i32 s0, 0x1000
	v_cvt_f32_f64_e32 v2, v[2:3]
	v_cvt_f32_f64_e32 v3, v[6:7]
	global_store_dwordx2 v[0:1], v[2:3], off
	global_load_dwordx2 v[2:3], v[100:101], off offset:2080
	s_waitcnt vmcnt(0)
	v_mul_f32_e32 v6, v5, v3
	v_mul_f32_e32 v3, v4, v3
	v_fmac_f32_e32 v6, v4, v2
	v_fma_f32 v4, v2, v5, -v3
	v_cvt_f64_f32_e32 v[2:3], v6
	v_cvt_f64_f32_e32 v[4:5], v4
	v_mul_f64 v[2:3], v[2:3], s[2:3]
	v_mul_f64 v[4:5], v[4:5], s[2:3]
	v_cvt_f32_f64_e32 v2, v[2:3]
	v_cvt_f32_f64_e32 v3, v[4:5]
	v_add_co_u32_e32 v4, vcc, s4, v0
	v_addc_co_u32_e32 v5, vcc, v1, v10, vcc
	global_store_dwordx2 v[4:5], v[2:3], off
	global_load_dwordx2 v[6:7], v[100:101], off offset:3360
	v_add_u32_e32 v0, 0xc00, v129
	ds_read2_b64 v[0:3], v0 offset0:36 offset1:196
	s_waitcnt vmcnt(0) lgkmcnt(0)
	v_mul_f32_e32 v8, v1, v7
	v_mul_f32_e32 v7, v0, v7
	v_fmac_f32_e32 v8, v0, v6
	v_fma_f32 v6, v6, v1, -v7
	v_cvt_f64_f32_e32 v[0:1], v8
	v_cvt_f64_f32_e32 v[6:7], v6
	v_add_co_u32_e32 v8, vcc, s0, v100
	v_mul_f64 v[0:1], v[0:1], s[2:3]
	v_mul_f64 v[6:7], v[6:7], s[2:3]
	v_addc_co_u32_e32 v9, vcc, 0, v101, vcc
	v_add_co_u32_e32 v4, vcc, s4, v4
	v_addc_co_u32_e32 v5, vcc, v5, v10, vcc
	v_cvt_f32_f64_e32 v0, v[0:1]
	v_cvt_f32_f64_e32 v1, v[6:7]
	s_movk_i32 s0, 0x2000
	global_store_dwordx2 v[4:5], v[0:1], off
	global_load_dwordx2 v[0:1], v[8:9], off offset:544
	v_add_co_u32_e32 v4, vcc, s4, v4
	v_addc_co_u32_e32 v5, vcc, v5, v10, vcc
	s_waitcnt vmcnt(0)
	v_mul_f32_e32 v6, v3, v1
	v_mul_f32_e32 v1, v2, v1
	v_fmac_f32_e32 v6, v2, v0
	v_fma_f32 v2, v0, v3, -v1
	v_cvt_f64_f32_e32 v[0:1], v6
	v_cvt_f64_f32_e32 v[2:3], v2
	v_mul_f64 v[0:1], v[0:1], s[2:3]
	v_mul_f64 v[2:3], v[2:3], s[2:3]
	v_cvt_f32_f64_e32 v0, v[0:1]
	v_cvt_f32_f64_e32 v1, v[2:3]
	global_store_dwordx2 v[4:5], v[0:1], off
	global_load_dwordx2 v[6:7], v[8:9], off offset:1824
	v_add_u32_e32 v0, 0x1600, v129
	ds_read2_b64 v[0:3], v0 offset0:36 offset1:196
	v_add_co_u32_e32 v4, vcc, s4, v4
	v_addc_co_u32_e32 v5, vcc, v5, v10, vcc
	s_waitcnt vmcnt(0) lgkmcnt(0)
	v_mul_f32_e32 v11, v1, v7
	v_mul_f32_e32 v7, v0, v7
	v_fmac_f32_e32 v11, v0, v6
	v_fma_f32 v6, v6, v1, -v7
	v_cvt_f64_f32_e32 v[0:1], v11
	v_cvt_f64_f32_e32 v[6:7], v6
	v_mul_f64 v[0:1], v[0:1], s[2:3]
	v_mul_f64 v[6:7], v[6:7], s[2:3]
	v_cvt_f32_f64_e32 v0, v[0:1]
	v_cvt_f32_f64_e32 v1, v[6:7]
	global_store_dwordx2 v[4:5], v[0:1], off
	global_load_dwordx2 v[0:1], v[8:9], off offset:3104
	s_waitcnt vmcnt(0)
	v_mul_f32_e32 v6, v3, v1
	v_mul_f32_e32 v1, v2, v1
	v_fmac_f32_e32 v6, v2, v0
	v_fma_f32 v2, v0, v3, -v1
	v_cvt_f64_f32_e32 v[0:1], v6
	v_cvt_f64_f32_e32 v[2:3], v2
	v_add_co_u32_e32 v6, vcc, s0, v100
	v_mul_f64 v[0:1], v[0:1], s[2:3]
	v_mul_f64 v[2:3], v[2:3], s[2:3]
	v_addc_co_u32_e32 v7, vcc, 0, v101, vcc
	v_add_co_u32_e32 v4, vcc, s4, v4
	v_addc_co_u32_e32 v5, vcc, v5, v10, vcc
	v_cvt_f32_f64_e32 v0, v[0:1]
	v_cvt_f32_f64_e32 v1, v[2:3]
	s_movk_i32 s0, 0x3000
	global_store_dwordx2 v[4:5], v[0:1], off
	global_load_dwordx2 v[8:9], v[6:7], off offset:288
	v_add_u32_e32 v0, 0x2000, v129
	ds_read2_b64 v[0:3], v0 offset0:36 offset1:196
	v_add_co_u32_e32 v4, vcc, s4, v4
	v_addc_co_u32_e32 v5, vcc, v5, v10, vcc
	s_waitcnt vmcnt(0) lgkmcnt(0)
	v_mul_f32_e32 v11, v1, v9
	v_mul_f32_e32 v9, v0, v9
	v_fmac_f32_e32 v11, v0, v8
	v_fma_f32 v8, v8, v1, -v9
	v_cvt_f64_f32_e32 v[0:1], v11
	v_cvt_f64_f32_e32 v[8:9], v8
	v_mul_f64 v[0:1], v[0:1], s[2:3]
	v_mul_f64 v[8:9], v[8:9], s[2:3]
	v_cvt_f32_f64_e32 v0, v[0:1]
	v_cvt_f32_f64_e32 v1, v[8:9]
	global_store_dwordx2 v[4:5], v[0:1], off
	global_load_dwordx2 v[0:1], v[6:7], off offset:1568
	v_add_co_u32_e32 v4, vcc, s4, v4
	v_addc_co_u32_e32 v5, vcc, v5, v10, vcc
	s_waitcnt vmcnt(0)
	v_mul_f32_e32 v8, v3, v1
	v_mul_f32_e32 v1, v2, v1
	v_fmac_f32_e32 v8, v2, v0
	v_fma_f32 v2, v0, v3, -v1
	v_cvt_f64_f32_e32 v[0:1], v8
	v_cvt_f64_f32_e32 v[2:3], v2
	v_mul_f64 v[0:1], v[0:1], s[2:3]
	v_mul_f64 v[2:3], v[2:3], s[2:3]
	v_cvt_f32_f64_e32 v0, v[0:1]
	v_cvt_f32_f64_e32 v1, v[2:3]
	global_store_dwordx2 v[4:5], v[0:1], off
	global_load_dwordx2 v[6:7], v[6:7], off offset:2848
	v_add_u32_e32 v0, 0x2a00, v129
	ds_read2_b64 v[0:3], v0 offset0:36 offset1:196
	s_waitcnt vmcnt(0) lgkmcnt(0)
	v_mul_f32_e32 v8, v1, v7
	v_mul_f32_e32 v7, v0, v7
	v_fmac_f32_e32 v8, v0, v6
	v_fma_f32 v6, v6, v1, -v7
	v_cvt_f64_f32_e32 v[0:1], v8
	v_cvt_f64_f32_e32 v[6:7], v6
	v_add_co_u32_e32 v8, vcc, s0, v100
	v_mul_f64 v[0:1], v[0:1], s[2:3]
	v_mul_f64 v[6:7], v[6:7], s[2:3]
	v_addc_co_u32_e32 v9, vcc, 0, v101, vcc
	v_add_co_u32_e32 v4, vcc, s4, v4
	v_addc_co_u32_e32 v5, vcc, v5, v10, vcc
	v_cvt_f32_f64_e32 v0, v[0:1]
	v_cvt_f32_f64_e32 v1, v[6:7]
	global_store_dwordx2 v[4:5], v[0:1], off
	global_load_dwordx2 v[0:1], v[8:9], off offset:32
	s_waitcnt vmcnt(0)
	v_mul_f32_e32 v6, v3, v1
	v_mul_f32_e32 v1, v2, v1
	v_fmac_f32_e32 v6, v2, v0
	v_fma_f32 v2, v0, v3, -v1
	v_cvt_f64_f32_e32 v[0:1], v6
	v_cvt_f64_f32_e32 v[2:3], v2
	v_mul_f64 v[0:1], v[0:1], s[2:3]
	v_mul_f64 v[2:3], v[2:3], s[2:3]
	v_cvt_f32_f64_e32 v0, v[0:1]
	v_cvt_f32_f64_e32 v1, v[2:3]
	v_add_co_u32_e32 v2, vcc, s4, v4
	v_addc_co_u32_e32 v3, vcc, v5, v10, vcc
	global_store_dwordx2 v[2:3], v[0:1], off
.LBB0_23:
	s_endpgm
	.section	.rodata,"a",@progbits
	.p2align	6, 0x0
	.amdhsa_kernel bluestein_single_fwd_len1600_dim1_sp_op_CI_CI
		.amdhsa_group_segment_fixed_size 25600
		.amdhsa_private_segment_fixed_size 0
		.amdhsa_kernarg_size 104
		.amdhsa_user_sgpr_count 6
		.amdhsa_user_sgpr_private_segment_buffer 1
		.amdhsa_user_sgpr_dispatch_ptr 0
		.amdhsa_user_sgpr_queue_ptr 0
		.amdhsa_user_sgpr_kernarg_segment_ptr 1
		.amdhsa_user_sgpr_dispatch_id 0
		.amdhsa_user_sgpr_flat_scratch_init 0
		.amdhsa_user_sgpr_private_segment_size 0
		.amdhsa_uses_dynamic_stack 0
		.amdhsa_system_sgpr_private_segment_wavefront_offset 0
		.amdhsa_system_sgpr_workgroup_id_x 1
		.amdhsa_system_sgpr_workgroup_id_y 0
		.amdhsa_system_sgpr_workgroup_id_z 0
		.amdhsa_system_sgpr_workgroup_info 0
		.amdhsa_system_vgpr_workitem_id 0
		.amdhsa_next_free_vgpr 179
		.amdhsa_next_free_sgpr 20
		.amdhsa_reserve_vcc 1
		.amdhsa_reserve_flat_scratch 0
		.amdhsa_float_round_mode_32 0
		.amdhsa_float_round_mode_16_64 0
		.amdhsa_float_denorm_mode_32 3
		.amdhsa_float_denorm_mode_16_64 3
		.amdhsa_dx10_clamp 1
		.amdhsa_ieee_mode 1
		.amdhsa_fp16_overflow 0
		.amdhsa_exception_fp_ieee_invalid_op 0
		.amdhsa_exception_fp_denorm_src 0
		.amdhsa_exception_fp_ieee_div_zero 0
		.amdhsa_exception_fp_ieee_overflow 0
		.amdhsa_exception_fp_ieee_underflow 0
		.amdhsa_exception_fp_ieee_inexact 0
		.amdhsa_exception_int_div_zero 0
	.end_amdhsa_kernel
	.text
.Lfunc_end0:
	.size	bluestein_single_fwd_len1600_dim1_sp_op_CI_CI, .Lfunc_end0-bluestein_single_fwd_len1600_dim1_sp_op_CI_CI
                                        ; -- End function
	.section	.AMDGPU.csdata,"",@progbits
; Kernel info:
; codeLenInByte = 17152
; NumSgprs: 24
; NumVgprs: 179
; ScratchSize: 0
; MemoryBound: 0
; FloatMode: 240
; IeeeMode: 1
; LDSByteSize: 25600 bytes/workgroup (compile time only)
; SGPRBlocks: 2
; VGPRBlocks: 44
; NumSGPRsForWavesPerEU: 24
; NumVGPRsForWavesPerEU: 179
; Occupancy: 1
; WaveLimiterHint : 1
; COMPUTE_PGM_RSRC2:SCRATCH_EN: 0
; COMPUTE_PGM_RSRC2:USER_SGPR: 6
; COMPUTE_PGM_RSRC2:TRAP_HANDLER: 0
; COMPUTE_PGM_RSRC2:TGID_X_EN: 1
; COMPUTE_PGM_RSRC2:TGID_Y_EN: 0
; COMPUTE_PGM_RSRC2:TGID_Z_EN: 0
; COMPUTE_PGM_RSRC2:TIDIG_COMP_CNT: 0
	.type	__hip_cuid_8dbea204ae21bedd,@object ; @__hip_cuid_8dbea204ae21bedd
	.section	.bss,"aw",@nobits
	.globl	__hip_cuid_8dbea204ae21bedd
__hip_cuid_8dbea204ae21bedd:
	.byte	0                               ; 0x0
	.size	__hip_cuid_8dbea204ae21bedd, 1

	.ident	"AMD clang version 19.0.0git (https://github.com/RadeonOpenCompute/llvm-project roc-6.4.0 25133 c7fe45cf4b819c5991fe208aaa96edf142730f1d)"
	.section	".note.GNU-stack","",@progbits
	.addrsig
	.addrsig_sym __hip_cuid_8dbea204ae21bedd
	.amdgpu_metadata
---
amdhsa.kernels:
  - .args:
      - .actual_access:  read_only
        .address_space:  global
        .offset:         0
        .size:           8
        .value_kind:     global_buffer
      - .actual_access:  read_only
        .address_space:  global
        .offset:         8
        .size:           8
        .value_kind:     global_buffer
      - .actual_access:  read_only
        .address_space:  global
        .offset:         16
        .size:           8
        .value_kind:     global_buffer
      - .actual_access:  read_only
        .address_space:  global
        .offset:         24
        .size:           8
        .value_kind:     global_buffer
      - .actual_access:  read_only
        .address_space:  global
        .offset:         32
        .size:           8
        .value_kind:     global_buffer
      - .offset:         40
        .size:           8
        .value_kind:     by_value
      - .address_space:  global
        .offset:         48
        .size:           8
        .value_kind:     global_buffer
      - .address_space:  global
        .offset:         56
        .size:           8
        .value_kind:     global_buffer
      - .address_space:  global
        .offset:         64
        .size:           8
        .value_kind:     global_buffer
      - .address_space:  global
        .offset:         72
        .size:           8
        .value_kind:     global_buffer
      - .offset:         80
        .size:           4
        .value_kind:     by_value
      - .address_space:  global
        .offset:         88
        .size:           8
        .value_kind:     global_buffer
      - .address_space:  global
        .offset:         96
        .size:           8
        .value_kind:     global_buffer
    .group_segment_fixed_size: 25600
    .kernarg_segment_align: 8
    .kernarg_segment_size: 104
    .language:       OpenCL C
    .language_version:
      - 2
      - 0
    .max_flat_workgroup_size: 200
    .name:           bluestein_single_fwd_len1600_dim1_sp_op_CI_CI
    .private_segment_fixed_size: 0
    .sgpr_count:     24
    .sgpr_spill_count: 0
    .symbol:         bluestein_single_fwd_len1600_dim1_sp_op_CI_CI.kd
    .uniform_work_group_size: 1
    .uses_dynamic_stack: false
    .vgpr_count:     179
    .vgpr_spill_count: 0
    .wavefront_size: 64
amdhsa.target:   amdgcn-amd-amdhsa--gfx906
amdhsa.version:
  - 1
  - 2
...

	.end_amdgpu_metadata
